;; amdgpu-corpus repo=LLNL/RAJAPerf kind=compiled arch=gfx1250 opt=O3
	.amdgcn_target "amdgcn-amd-amdhsa--gfx1250"
	.amdhsa_code_object_version 6
	.section	.text._ZN8rajaperf4apps16intsc_hexhex_hipILm64EEEvPdS2_mS2_,"axG",@progbits,_ZN8rajaperf4apps16intsc_hexhex_hipILm64EEEvPdS2_mS2_,comdat
	.protected	_ZN8rajaperf4apps16intsc_hexhex_hipILm64EEEvPdS2_mS2_ ; -- Begin function _ZN8rajaperf4apps16intsc_hexhex_hipILm64EEEvPdS2_mS2_
	.globl	_ZN8rajaperf4apps16intsc_hexhex_hipILm64EEEvPdS2_mS2_
	.p2align	8
	.type	_ZN8rajaperf4apps16intsc_hexhex_hipILm64EEEvPdS2_mS2_,@function
_ZN8rajaperf4apps16intsc_hexhex_hipILm64EEEvPdS2_mS2_: ; @_ZN8rajaperf4apps16intsc_hexhex_hipILm64EEEvPdS2_mS2_
; %bb.0:
	s_bfe_u32 s4, ttmp6, 0x4000c
	s_and_b32 s5, ttmp6, 15
	s_add_co_i32 s4, s4, 1
	s_getreg_b32 s6, hwreg(HW_REG_IB_STS2, 6, 4)
	s_mul_i32 s4, ttmp9, s4
	v_and_b32_e32 v132, 0x3ff, v0
	s_add_co_i32 s4, s5, s4
	s_cmp_eq_u32 s6, 0
	s_mov_b32 s5, 0
	s_cselect_b32 s4, ttmp9, s4
	s_mov_b64 s[6:7], 0x8e38e38f
	s_lshl_b64 s[28:29], s[4:5], 6
	s_delay_alu instid0(SALU_CYCLE_1)
	v_dual_mov_b32 v11, 0 :: v_dual_bitop2_b32 v10, s28, v132 bitop3:0x54
	s_lshr_b32 s4, s4, 26
	s_load_b256 s[20:27], s[2:3], 0x0
	v_mov_b64_e32 v[18:19], 0
	v_mov_b64_e32 v[20:21], 0
	v_mul_u64_e32 v[2:3], s[6:7], v[10:11]
	v_mov_b32_e32 v5, v11
	v_mov_b64_e32 v[16:17], 0
	v_mov_b64_e32 v[22:23], 0
	s_mov_b32 s6, 1
	s_wait_xcnt 0x0
	s_mov_b32 s3, 6
	s_mov_b32 s30, exec_lo
	s_delay_alu instid0(VALU_DEP_4) | instskip(NEXT) | instid1(VALU_DEP_1)
	v_mov_b32_e32 v4, v3
	v_mad_nc_u64_u32 v[2:3], 0x8e38e38f, s4, v[4:5]
	s_delay_alu instid0(VALU_DEP_1) | instskip(NEXT) | instid1(VALU_DEP_1)
	v_dual_mov_b32 v4, v3 :: v_dual_mov_b32 v3, v11
	v_mad_nc_u64_u32 v[2:3], 0x38e38e3, v10, v[2:3]
	s_delay_alu instid0(VALU_DEP_1) | instskip(NEXT) | instid1(VALU_DEP_1)
	v_dual_mov_b32 v7, v11 :: v_dual_mov_b32 v6, v3
	v_add_nc_u64_e32 v[2:3], v[4:5], v[6:7]
	s_delay_alu instid0(VALU_DEP_1) | instskip(SKIP_2) | instid1(VALU_DEP_2)
	v_mad_nc_u64_u32 v[82:83], 0x38e38e3, s4, v[2:3]
	v_mov_b32_e32 v3, s29
	s_wait_kmcnt 0x0
	v_cmpx_gt_u64_e64 s[24:25], v[82:83]
	s_cbranch_execz .LBB0_121
; %bb.1:
	s_mov_b64 s[8:9], 0xaaaaaaab
	v_mul_lo_u32 v1, 0xc0, v83
	v_mul_u64_e32 v[4:5], s[8:9], v[10:11]
	v_mov_b32_e32 v2, v10
	s_get_pc_i64 s[8:9]
	s_add_nc_u64 s[8:9], s[8:9], __const._ZN8rajaperf14hex_intsc_subzEPKdS1_iiRdS2_S2_S2_.vert_cyc@rel64+4
	v_mad_nc_u64_u32 v[16:17], 0xc0, v82, s[22:23]
	s_get_pc_i64 s[10:11]
	s_add_nc_u64 s[10:11], s[10:11], __const._ZN8rajaperf14hex_intsc_subzEPKdS1_iiRdS2_S2_S2_.cyc_nod@rel64+48
	s_mov_b32 s7, 2
	s_mov_b32 s2, 5
	v_dual_mov_b32 v29, v11 :: v_dual_mov_b32 v134, -1
	v_dual_mov_b32 v137, -1 :: v_dual_mov_b32 v139, -1
	s_delay_alu instid0(VALU_DEP_3) | instskip(SKIP_1) | instid1(VALU_DEP_1)
	v_dual_mov_b32 v136, -1 :: v_dual_add_nc_u32 v17, v1, v17
	v_mov_b32_e32 v10, v5
	v_mad_nc_u64_u32 v[4:5], 0xaaaaaaab, v3, v[10:11]
	s_delay_alu instid0(VALU_DEP_1) | instskip(NEXT) | instid1(VALU_DEP_1)
	v_dual_mov_b32 v10, v5 :: v_dual_mov_b32 v5, v11
	v_mad_nc_u64_u32 v[4:5], 0x2aaaaaaa, v2, v[4:5]
	s_delay_alu instid0(VALU_DEP_1) | instskip(NEXT) | instid1(VALU_DEP_1)
	v_dual_mov_b32 v7, v11 :: v_dual_mov_b32 v6, v5
	v_add_nc_u64_e32 v[4:5], v[10:11], v[6:7]
	s_delay_alu instid0(VALU_DEP_1) | instskip(NEXT) | instid1(VALU_DEP_1)
	v_mad_nc_u64_u32 v[12:13], 0x2aaaaaaa, v3, v[4:5]
	v_mul_u64_e32 v[4:5], 6, v[12:13]
	v_mov_b32_e32 v10, v12
	s_delay_alu instid0(VALU_DEP_1) | instskip(NEXT) | instid1(VALU_DEP_3)
	v_mul_u64_e32 v[18:19], 0x55555556, v[10:11]
	v_sub_nc_u64_e32 v[2:3], v[2:3], v[4:5]
	s_delay_alu instid0(VALU_DEP_2) | instskip(NEXT) | instid1(VALU_DEP_2)
	v_mov_b32_e32 v10, v19
	v_lshlrev_b64_e32 v[4:5], 2, v[2:3]
	v_cmp_gt_u64_e32 vcc_lo, 5, v[2:3]
	s_delay_alu instid0(VALU_DEP_3) | instskip(NEXT) | instid1(VALU_DEP_3)
	v_mad_nc_u64_u32 v[18:19], 0x55555556, v13, v[10:11]
	v_add_nc_u64_e32 v[6:7], s[8:9], v[4:5]
	v_cndmask_b32_e64 v3, -1, 0, vcc_lo
	v_cndmask_b32_e64 v2, 0xffffffec, 4, vcc_lo
	global_load_b32 v6, v[6:7], off
	v_add_nc_u64_e32 v[2:3], s[8:9], v[2:3]
	v_dual_mov_b32 v10, v19 :: v_dual_mov_b32 v19, v11
	s_get_pc_i64 s[8:9]
	s_add_nc_u64 s[8:9], s[8:9], __const._ZN8rajaperf14hex_intsc_subzEPKdS1_iiRdS2_S2_S2_.cyc_nod@rel64+8
	s_delay_alu instid0(VALU_DEP_2) | instskip(NEXT) | instid1(VALU_DEP_2)
	v_add_nc_u64_e32 v[2:3], v[2:3], v[4:5]
	v_mad_nc_u64_u32 v[18:19], 0x15555555, v12, v[18:19]
	global_load_b32 v14, v[2:3], off
	v_mov_b32_e32 v28, v19
	s_delay_alu instid0(VALU_DEP_1) | instskip(SKIP_3) | instid1(VALU_DEP_1)
	v_add_nc_u64_e32 v[18:19], v[10:11], v[28:29]
	s_wait_loadcnt 0x1
	s_wait_xcnt 0x1
	v_ashrrev_i32_e32 v7, 31, v6
	v_lshl_add_u64 v[20:21], v[6:7], 3, v[16:17]
	s_clause 0x3
	global_load_b64 v[84:85], v[16:17], off
	global_load_b128 v[6:9], v[16:17], off offset:56
	global_load_b128 v[2:5], v[16:17], off offset:120
	global_load_b64 v[22:23], v[20:21], off
	s_wait_loadcnt 0x4
	v_ashrrev_i32_e32 v15, 31, v14
	s_delay_alu instid0(VALU_DEP_1)
	v_lshl_add_u64 v[14:15], v[14:15], 3, v[16:17]
	s_clause 0x3
	global_load_b64 v[24:25], v[14:15], off offset:64
	global_load_b64 v[26:27], v[14:15], off offset:128
	global_load_b64 v[28:29], v[16:17], off offset:184
	global_load_b64 v[30:31], v[14:15], off
	s_wait_xcnt 0x0
	v_mad_nc_u64_u32 v[14:15], 0x15555555, v13, v[18:19]
	s_clause 0x1
	global_load_b64 v[16:17], v[20:21], off offset:64
	global_load_b64 v[18:19], v[20:21], off offset:128
	v_mul_u64_e32 v[14:15], 12, v[14:15]
	s_delay_alu instid0(VALU_DEP_1) | instskip(NEXT) | instid1(VALU_DEP_1)
	v_sub_nc_u64_e32 v[12:13], v[12:13], v[14:15]
	v_lshlrev_b32_e32 v10, 2, v12
	s_delay_alu instid0(VALU_DEP_2) | instskip(NEXT) | instid1(VALU_DEP_2)
	v_cmp_gt_u64_e32 vcc_lo, 6, v[12:13]
	v_add_nc_u64_e32 v[14:15], s[8:9], v[10:11]
	s_wait_xcnt 0x0
	v_sub_nc_u64_e32 v[20:21], s[10:11], v[10:11]
	v_sub_nc_u32_e32 v10, 12, v12
	s_get_pc_i64 s[8:9]
	s_add_nc_u64 s[8:9], s[8:9], __const._ZN8rajaperf14hex_intsc_subzEPKdS1_iiRdS2_S2_S2_.cyc_nod@rel64+4
	s_delay_alu instid0(VALU_DEP_1) | instskip(NEXT) | instid1(VALU_DEP_3)
	v_dual_cndmask_b32 v13, v21, v15 :: v_dual_cndmask_b32 v10, v10, v12
	v_cndmask_b32_e32 v12, v20, v14, vcc_lo
	global_load_b32 v14, v10, s[8:9] scale_offset
	global_load_b32 v20, v[12:13], off
	s_wait_xcnt 0x1
	v_cndmask_b32_e64 v10, 56, 0, vcc_lo
	s_load_b64 s[8:9], s[0:1], 0x4
	s_wait_kmcnt 0x0
	s_lshr_b32 s0, s8, 16
	s_delay_alu instid0(SALU_CYCLE_1)
	s_mul_i32 s0, s0, s9
	s_wait_loadcnt 0xa
	v_add_f64_e64 v[6:7], v[6:7], -v[84:85]
	s_wait_loadcnt 0x9
	v_add_f64_e64 v[86:87], v[2:3], -v[8:9]
	;; [unrolled: 2-line block ×5, first 2 shown]
	v_mad_nc_u64_u32 v[24:25], 0xc0, v82, s[20:21]
	s_wait_loadcnt 0x5
	v_add_f64_e64 v[88:89], v[28:29], -v[4:5]
	s_wait_loadcnt 0x4
	v_add_f64_e64 v[94:95], v[30:31], -v[84:85]
	;; [unrolled: 2-line block ×4, first 2 shown]
	v_add_nc_u32_e32 v25, v1, v25
	v_bfe_u32 v1, v0, 10, 10
	v_mul_f64_e32 v[12:13], v[98:99], v[92:93]
	v_mul_f64_e32 v[38:39], v[92:93], v[6:7]
	;; [unrolled: 1-line block ×5, first 2 shown]
	s_wait_loadcnt 0x1
	v_dual_mul_f64 v[58:59], v[100:101], v[88:89] :: v_dual_ashrrev_i32 v15, 31, v14
	v_mul_f64_e32 v[2:3], v[98:99], v[86:87]
	v_mul_f64_e32 v[18:19], v[94:95], v[86:87]
	v_mul_f64_e32 v[52:53], v[90:91], v[86:87]
	v_fma_f64 v[50:51], v[98:99], v[88:89], -v[50:51]
	v_fma_f64 v[58:59], v[96:97], v[86:87], -v[58:59]
	v_lshl_add_u64 v[14:15], v[14:15], 3, v[24:25]
	s_wait_loadcnt 0x0
	v_ashrrev_i32_e32 v21, 31, v20
	s_delay_alu instid0(VALU_DEP_1) | instskip(SKIP_3) | instid1(VALU_DEP_3)
	v_lshl_add_u64 v[20:21], v[20:21], 3, v[24:25]
	v_mul_f64_e32 v[22:23], v[90:91], v[2:3]
	v_fma_f64 v[2:3], v[100:101], v[6:7], -v[2:3]
	v_fma_f64 v[52:53], v[92:93], v[88:89], -v[52:53]
	;; [unrolled: 1-line block ×3, first 2 shown]
	s_delay_alu instid0(VALU_DEP_1)
	v_fmac_f64_e32 v[22:23], v[96:97], v[18:19]
	v_add_nc_u64_e32 v[18:19], v[24:25], v[10:11]
	v_bfe_u32 v10, v0, 20, 10
	s_clause 0x8
	global_load_b64 v[26:27], v[18:19], off offset:64
	global_load_b64 v[24:25], v[14:15], off offset:64
	;; [unrolled: 1-line block ×3, first 2 shown]
	global_load_b64 v[32:33], v[18:19], off
	global_load_b64 v[34:35], v[14:15], off
	;; [unrolled: 1-line block ×3, first 2 shown]
	global_load_b64 v[40:41], v[18:19], off offset:128
	global_load_b64 v[42:43], v[14:15], off offset:128
	;; [unrolled: 1-line block ×3, first 2 shown]
	v_fma_f64 v[22:23], -v[16:17], v[88:89], v[22:23]
	s_delay_alu instid0(VALU_DEP_1) | instskip(NEXT) | instid1(VALU_DEP_1)
	v_fmac_f64_e32 v[22:23], v[90:91], v[28:29]
	v_fma_f64 v[102:103], -v[96:97], v[38:39], v[22:23]
	v_mul_f64_e32 v[22:23], v[94:95], v[88:89]
	v_fma_f64 v[38:39], v[94:95], v[86:87], -v[38:39]
	s_wait_xcnt 0x1
	s_delay_alu instid0(VALU_DEP_3) | instskip(NEXT) | instid1(VALU_DEP_3)
	v_fmaak_f64 v[14:15], v[102:103], v[102:103], 0x2b2bff2ee48e0530
	v_fma_f64 v[54:55], v[90:91], v[6:7], -v[22:23]
	s_delay_alu instid0(VALU_DEP_2) | instskip(SKIP_1) | instid1(VALU_DEP_2)
	v_div_scale_f64 v[18:19], null, v[14:15], v[14:15], v[102:103]
	v_div_scale_f64 v[48:49], vcc_lo, v[102:103], v[14:15], v[102:103]
	v_rcp_f64_e32 v[46:47], v[18:19]
	s_wait_xcnt 0x0
	v_nop
	s_delay_alu instid0(TRANS32_DEP_1) | instskip(NEXT) | instid1(VALU_DEP_1)
	v_fma_f64 v[20:21], -v[18:19], v[46:47], 1.0
	v_fmac_f64_e32 v[46:47], v[46:47], v[20:21]
	s_delay_alu instid0(VALU_DEP_1) | instskip(NEXT) | instid1(VALU_DEP_1)
	v_fma_f64 v[20:21], -v[18:19], v[46:47], 1.0
	v_fmac_f64_e32 v[46:47], v[46:47], v[20:21]
	s_wait_loadcnt 0x5
	v_add_f64_e64 v[20:21], v[32:33], -v[84:85]
	v_add_f64_e64 v[28:29], v[24:25], -v[8:9]
	s_wait_loadcnt 0x4
	v_add_f64_e64 v[24:25], v[34:35], -v[84:85]
	s_wait_loadcnt 0x2
	v_add_f64_e64 v[34:35], v[40:41], -v[4:5]
	v_add_f64_e64 v[26:27], v[26:27], -v[8:9]
	;; [unrolled: 1-line block ×4, first 2 shown]
	s_wait_loadcnt 0x1
	v_add_f64_e64 v[36:37], v[42:43], -v[4:5]
	s_wait_loadcnt 0x0
	v_add_f64_e64 v[32:33], v[44:45], -v[4:5]
	v_mul_f64_e32 v[56:57], v[48:49], v[46:47]
	v_mul_f64_e32 v[42:43], v[28:29], v[50:51]
	;; [unrolled: 1-line block ×5, first 2 shown]
	v_mul_u32_u24_e32 v50, s9, v1
	v_mul_u32_u24_e32 v51, s0, v132
	s_mov_b64 s[0:1], 0x4ffffffff
	s_mov_b64 s[8:9], 0x800000007
	v_fma_f64 v[18:19], -v[18:19], v[56:57], v[48:49]
	v_mul_f64_e32 v[48:49], v[28:29], v[54:55]
	v_mul_f64_e32 v[54:55], v[22:23], v[54:55]
	v_add3_u32 v10, v51, v50, v10
	s_delay_alu instid0(VALU_DEP_1) | instskip(NEXT) | instid1(VALU_DEP_1)
	v_mul_lo_u32 v10, 0x50, v10
	v_add_nc_u32_e32 v133, 0x80, v10
	v_fmac_f64_e32 v[42:43], v[24:25], v[58:59]
	v_fmac_f64_e32 v[60:61], v[20:21], v[52:53]
	;; [unrolled: 1-line block ×4, first 2 shown]
	v_div_fmas_f64 v[18:19], v[18:19], v[46:47], v[56:57]
	v_fmac_f64_e32 v[48:49], v[24:25], v[52:53]
	v_fmac_f64_e32 v[54:55], v[30:31], v[52:53]
	;; [unrolled: 1-line block ×6, first 2 shown]
	v_div_fixup_f64 v[14:15], v[18:19], v[14:15], v[102:103]
	v_fmac_f64_e32 v[48:49], v[36:37], v[38:39]
	v_fmac_f64_e32 v[54:55], v[32:33], v[38:39]
	s_delay_alu instid0(VALU_DEP_3) | instskip(NEXT) | instid1(VALU_DEP_3)
	v_fma_f64 v[18:19], -v[60:61], v[14:15], 1.0
	v_fma_f64 v[38:39], -v[48:49], v[14:15], 1.0
	s_delay_alu instid0(VALU_DEP_3)
	v_fma_f64 v[46:47], -v[54:55], v[14:15], 1.0
	v_mul_f64_e32 v[64:65], v[40:41], v[14:15]
	v_mul_f64_e32 v[66:67], v[42:43], v[14:15]
	;; [unrolled: 1-line block ×6, first 2 shown]
	v_fma_f64 v[0:1], -v[40:41], v[14:15], v[18:19]
	v_fma_f64 v[2:3], -v[42:43], v[14:15], v[38:39]
	;; [unrolled: 1-line block ×3, first 2 shown]
	v_mov_b64_e32 v[38:39], s[6:7]
	v_mov_b64_e32 v[40:41], s[0:1]
	;; [unrolled: 1-line block ×4, first 2 shown]
                                        ; implicit-def: $sgpr8
	ds_store_2addr_b64 v10, v[38:39], v[40:41] offset0:21 offset1:22
	ds_store_2addr_b64 v10, v[42:43], v[44:45] offset0:23 offset1:24
	v_mov_b32_e32 v40, 3
	scratch_store_b32 off, v40, off offset:4
	ds_store_b32 v10, v134 offset:200
	ds_store_b128 v10, v[0:3] offset:128
	ds_store_b64 v10, v[18:19] offset:144
	v_mov_b64_e32 v[38:39], v[0:1]
.LBB0_2:                                ; =>This Inner Loop Header: Depth=1
	v_lshl_add_u32 v10, v11, 2, v133
	s_delay_alu instid0(VALU_DEP_2)
	v_cmp_le_f64_e32 vcc_lo, 0, v[38:39]
	v_cmp_gt_f64_e64 s1, 0, v[38:39]
	v_mov_b32_e32 v135, v136
	ds_load_b32 v10, v10 offset:40
	s_wait_dscnt 0x0
	v_max_i32_e32 v42, 0, v10
	v_cmp_gt_i32_e64 s3, 0, v10
	s_wait_xcnt 0x0
	s_delay_alu instid0(VALU_DEP_2)
	v_lshl_add_u32 v40, v42, 3, v133
	ds_load_b64 v[40:41], v40
	s_wait_dscnt 0x0
	v_cmp_gt_f64_e64 s0, 0, v[40:41]
	v_cmp_le_f64_e64 s2, 0, v[40:41]
	v_mov_b64_e32 v[38:39], v[40:41]
	s_and_b32 vcc_lo, vcc_lo, s0
	s_and_b32 s0, s1, s2
	v_dual_cndmask_b32 v139, v139, v42 :: v_dual_cndmask_b32 v134, v134, v11
	v_dual_cndmask_b32 v136, v135, v42, s0 :: v_dual_cndmask_b32 v137, v137, v11, s0
	s_or_b32 s5, s3, s5
	v_mov_b32_e32 v11, v10
	s_and_not1_b32 s0, s8, exec_lo
	s_and_b32 s1, s1, exec_lo
	s_delay_alu instid0(SALU_CYCLE_1)
	s_or_b32 s8, s0, s1
	s_and_not1_b32 exec_lo, exec_lo, s5
	s_cbranch_execnz .LBB0_2
; %bb.3:
	s_or_b32 exec_lo, exec_lo, s5
	v_dual_mul_f64 v[10:11], v[98:99], v[90:91] :: v_dual_mov_b32 v70, 0
	v_dual_mul_f64 v[38:39], v[96:97], v[92:93] :: v_dual_mov_b32 v138, -1
	v_add_f64_e64 v[12:13], v[12:13], -v[16:17]
	v_cmp_lt_i32_e64 s0, -1, v134
	s_delay_alu instid0(VALU_DEP_4)
	v_dual_mov_b32 v74, v70 :: v_dual_mov_b32 v75, v70
	v_dual_mov_b32 v76, v70 :: v_dual_mov_b32 v77, v70
	;; [unrolled: 1-line block ×13, first 2 shown]
	v_dual_fma_f64 v[10:11], v[96:97], v[94:95], -v[10:11] :: v_dual_mov_b32 v56, v70
	v_dual_fma_f64 v[38:39], v[100:101], v[90:91], -v[38:39] :: v_dual_mov_b32 v71, v70
	v_dual_mov_b32 v72, v70 :: v_dual_mov_b32 v47, v70
	v_dual_mov_b32 v52, v70 :: v_dual_mov_b32 v63, v70
	;; [unrolled: 1-line block ×6, first 2 shown]
	v_dual_mov_b32 v73, v70 :: v_dual_mov_b32 v140, -1
	v_dual_mov_b32 v141, -1 :: v_dual_mov_b32 v54, v70
	v_mul_f64_e32 v[26:27], v[26:27], v[10:11]
	v_mul_f64_e32 v[28:29], v[28:29], v[10:11]
	;; [unrolled: 1-line block ×3, first 2 shown]
	s_delay_alu instid0(VALU_DEP_3) | instskip(NEXT) | instid1(VALU_DEP_3)
	v_fmac_f64_e32 v[26:27], v[20:21], v[38:39]
	v_fmac_f64_e32 v[28:29], v[24:25], v[38:39]
	s_delay_alu instid0(VALU_DEP_3) | instskip(NEXT) | instid1(VALU_DEP_3)
	v_fmac_f64_e32 v[10:11], v[30:31], v[38:39]
	v_fmac_f64_e32 v[26:27], v[34:35], v[12:13]
	;; [unrolled: 3-line block ×3, first 2 shown]
	v_mov_b32_e32 v127, v70
	s_delay_alu instid0(VALU_DEP_4) | instskip(NEXT) | instid1(VALU_DEP_4)
	v_mul_f64_e32 v[108:109], v[26:27], v[14:15]
	v_mul_f64_e32 v[106:107], v[28:29], v[14:15]
	s_delay_alu instid0(VALU_DEP_4)
	v_mul_f64_e32 v[104:105], v[10:11], v[14:15]
	v_fma_f64 v[118:119], -v[26:27], v[14:15], v[0:1]
	v_fma_f64 v[116:117], -v[28:29], v[14:15], v[2:3]
	;; [unrolled: 1-line block ×3, first 2 shown]
	v_mov_b64_e32 v[12:13], v[64:65]
	v_mov_b64_e32 v[14:15], v[66:67]
	v_mov_b64_e32 v[16:17], v[68:69]
	v_mov_b64_e32 v[18:19], v[70:71]
	v_mov_b64_e32 v[20:21], v[72:73]
	v_mov_b64_e32 v[22:23], v[74:75]
	v_mov_b64_e32 v[24:25], v[76:77]
	v_mov_b64_e32 v[26:27], v[78:79]
	v_mov_b64_e32 v[28:29], v[80:81]
	v_mov_b64_e32 v[30:31], v[82:83]
	v_dual_mov_b32 v10, v70 :: v_dual_mov_b32 v11, v70
	v_dual_mov_b32 v30, v70 :: v_dual_mov_b32 v31, v70
	v_mov_b64_e32 v[32:33], v[84:85]
	v_mov_b64_e32 v[34:35], v[86:87]
	;; [unrolled: 1-line block ×6, first 2 shown]
	s_and_saveexec_b32 s9, s0
	s_cbranch_execz .LBB0_5
; %bb.4:
	v_lshl_add_u32 v10, v139, 3, v133
	v_lshl_add_u32 v12, v134, 3, v133
	;; [unrolled: 1-line block ×4, first 2 shown]
	v_cmp_eq_u32_e64 s4, 1, v134
	ds_load_b64 v[10:11], v10
	ds_load_b64 v[12:13], v12
	;; [unrolled: 1-line block ×4, first 2 shown]
	v_cmp_eq_u32_e64 s5, 1, v139
	v_cmp_eq_u32_e64 s6, 2, v134
	v_cndmask_b32_e64 v43, v114, v112, s4
	v_cmp_eq_u32_e64 s7, 2, v139
	v_cmp_eq_u32_e64 s1, 1, v136
	v_dual_cndmask_b32 v45, v65, v67, s5 :: v_dual_cndmask_b32 v46, v64, v66, s5
	v_dual_cndmask_b32 v49, v109, v107, s5 :: v_dual_cndmask_b32 v50, v108, v106, s5
	;; [unrolled: 1-line block ×3, first 2 shown]
	v_cmp_eq_u32_e64 s2, 1, v137
	v_dual_cndmask_b32 v47, v109, v107, s4 :: v_dual_cndmask_b32 v48, v108, v106, s4
	v_dual_cndmask_b32 v51, v119, v117, s4 :: v_dual_cndmask_b32 v52, v118, v116, s4
	s_wait_dscnt 0x3
	v_add_f64_e64 v[18:19], -v[10:11], 0
	s_wait_dscnt 0x2
	v_dual_add_f64 v[26:27], v[12:13], -v[10:11] :: v_dual_mov_b32 v140, 3
	s_wait_dscnt 0x1
	v_add_f64_e64 v[10:11], -v[14:15], 0
	s_wait_dscnt 0x0
	v_dual_add_f64 v[20:21], v[16:17], -v[14:15] :: v_dual_cndmask_b32 v38, v115, v113, s4
	v_dual_cndmask_b32 v41, v115, v113, s1 :: v_dual_cndmask_b32 v42, v115, v113, s2
	v_dual_cndmask_b32 v56, v114, v112, s2 :: v_dual_cndmask_b32 v57, v65, v67, s1
	;; [unrolled: 1-line block ×3, first 2 shown]
	v_dual_mov_b32 v58, v70 :: v_dual_mov_b32 v63, v70
	v_dual_mov_b32 v141, 4 :: v_dual_mov_b32 v39, 5
	v_dual_cndmask_b32 v40, v115, v113, s5 :: v_dual_cndmask_b32 v38, v38, v111, s6
	v_dual_cndmask_b32 v44, v64, v66, s4 :: v_dual_cndmask_b32 v55, v114, v112, s1
	scratch_store_b32 off, v39, off offset:4
	v_dual_cndmask_b32 v59, v64, v66, s1 :: v_dual_mov_b32 v62, v70
	v_div_scale_f64 v[12:13], null, v[26:27], v[26:27], v[18:19]
	v_div_scale_f64 v[34:35], vcc_lo, v[18:19], v[26:27], v[18:19]
	v_div_scale_f64 v[16:17], null, v[20:21], v[20:21], v[10:11]
	s_delay_alu instid0(VALU_DEP_3) | instskip(NEXT) | instid1(VALU_DEP_1)
	v_rcp_f64_e32 v[24:25], v[12:13]
	v_rcp_f64_e32 v[28:29], v[16:17]
	s_delay_alu instid0(TRANS32_DEP_2) | instskip(NEXT) | instid1(TRANS32_DEP_1)
	v_fma_f64 v[14:15], -v[12:13], v[24:25], 1.0
	v_fma_f64 v[22:23], -v[16:17], v[28:29], 1.0
	s_delay_alu instid0(VALU_DEP_2) | instskip(NEXT) | instid1(VALU_DEP_2)
	v_fmac_f64_e32 v[24:25], v[24:25], v[14:15]
	v_fmac_f64_e32 v[28:29], v[28:29], v[22:23]
	v_div_scale_f64 v[22:23], s3, v[10:11], v[20:21], v[10:11]
	s_delay_alu instid0(VALU_DEP_3) | instskip(NEXT) | instid1(VALU_DEP_3)
	v_fma_f64 v[14:15], -v[12:13], v[24:25], 1.0
	v_fma_f64 v[30:31], -v[16:17], v[28:29], 1.0
	s_delay_alu instid0(VALU_DEP_2) | instskip(SKIP_1) | instid1(VALU_DEP_3)
	v_fmac_f64_e32 v[24:25], v[24:25], v[14:15]
	v_mov_b32_e32 v14, v66
	v_fmac_f64_e32 v[28:29], v[28:29], v[30:31]
	s_delay_alu instid0(VALU_DEP_3) | instskip(NEXT) | instid1(VALU_DEP_2)
	v_mul_f64_e32 v[30:31], v[34:35], v[24:25]
	v_mul_f64_e32 v[32:33], v[22:23], v[28:29]
	s_delay_alu instid0(VALU_DEP_2) | instskip(SKIP_1) | instid1(VALU_DEP_3)
	v_dual_fma_f64 v[34:35], -v[12:13], v[30:31], v[34:35] :: v_dual_mov_b32 v15, v67
	v_dual_mov_b32 v12, v64 :: v_dual_mov_b32 v13, v65
	v_fma_f64 v[36:37], -v[16:17], v[32:33], v[22:23]
	v_dual_mov_b32 v16, v68 :: v_dual_mov_b32 v17, v69
	v_dual_mov_b32 v22, v70 :: v_dual_mov_b32 v23, v70
	v_div_fmas_f64 v[30:31], v[34:35], v[24:25], v[30:31]
	v_dual_cndmask_b32 v35, v114, v112, s5 :: v_dual_cndmask_b32 v34, v40, v111, s7
	s_mov_b32 vcc_lo, s3
	v_cmp_eq_u32_e64 s3, 3, v139
	v_div_fmas_f64 v[28:29], v[36:37], v[28:29], v[32:33]
	v_dual_cndmask_b32 v32, v49, v105, s7 :: v_dual_cndmask_b32 v33, v50, v104, s7
	v_cmp_eq_u32_e64 s5, 4, v139
	v_cndmask_b32_e64 v40, v65, v67, s4
	v_cmp_eq_u32_e64 s4, 2, v136
	v_cmp_eq_u32_e32 vcc_lo, 2, v137
	v_dual_mov_b32 v24, v70 :: v_dual_mov_b32 v25, v70
	s_delay_alu instid0(VALU_DEP_3) | instskip(SKIP_2) | instid1(VALU_DEP_1)
	v_dual_mov_b32 v50, v70 :: v_dual_cndmask_b32 v41, v41, v111, s4
	v_cndmask_b32_e32 v42, v42, v111, vcc_lo
	v_cndmask_b32_e64 v32, v32, 0, s3
	v_cndmask_b32_e64 v32, v32, 0, s5
	v_div_fixup_f64 v[26:27], v[30:31], v[26:27], v[18:19]
	v_dual_cndmask_b32 v19, v35, v110, s7 :: v_dual_cndmask_b32 v30, v45, v69, s7
	v_cndmask_b32_e64 v18, v34, 0, s3
	v_dual_cndmask_b32 v31, v46, v68, s7 :: v_dual_cndmask_b32 v34, v53, v3, s7
	v_cndmask_b32_e64 v35, v54, v2, s7
	s_delay_alu instid0(VALU_DEP_4) | instskip(SKIP_1) | instid1(VALU_DEP_4)
	v_cndmask_b32_e64 v30, v30, 0, s3
	v_cndmask_b32_e64 v19, v19, 0, s3
	;; [unrolled: 1-line block ×6, first 2 shown]
	v_cmp_eq_u32_e64 s3, 5, v139
	v_cndmask_b32_e64 v30, v30, 0, s5
	v_cndmask_b32_e64 v36, v31, 0, s5
	;; [unrolled: 1-line block ×9, first 2 shown]
	v_cmp_eq_u32_e64 s5, 6, v139
	v_cndmask_b32_e64 v19, v19, 0, s3
	v_cndmask_b32_e64 v36, v36, 0, s3
	;; [unrolled: 1-line block ×7, first 2 shown]
	v_cmp_eq_u32_e64 s3, 7, v139
	v_add_f64_e64 v[30:31], -v[26:27], 1.0
	v_cndmask_b32_e64 v19, v19, 0, s5
	v_cndmask_b32_e64 v37, v37, 0, s5
	;; [unrolled: 1-line block ×8, first 2 shown]
	v_cmp_eq_u32_e64 s5, 8, v139
	v_cndmask_b32_e64 v36, v36, 0, s3
	v_cndmask_b32_e64 v45, v45, 0, s3
	;; [unrolled: 1-line block ×9, first 2 shown]
	v_cmp_eq_u32_e64 s3, 3, v134
	v_cndmask_b32_e64 v32, v18, 0, s5
	v_cndmask_b32_e64 v19, v19, 0, s5
	;; [unrolled: 1-line block ×6, first 2 shown]
	v_cmp_eq_u32_e64 s5, 4, v134
	v_div_fixup_f64 v[10:11], v[28:29], v[20:21], v[10:11]
	v_dual_cndmask_b32 v46, v108, v106, s1 :: v_dual_cndmask_b32 v49, v109, v107, s2
	v_dual_cndmask_b32 v45, v109, v107, s1 :: v_dual_mov_b32 v53, v70
	v_mul_f64_e32 v[18:19], v[18:19], v[30:31]
	v_mul_f64_e32 v[124:125], v[32:33], v[30:31]
	v_dual_mul_f64 v[120:121], v[34:35], v[30:31] :: v_dual_cndmask_b32 v34, v44, v68, s6
	v_mul_f64_e32 v[128:129], v[36:37], v[30:31]
	v_dual_cndmask_b32 v31, v43, v110, s6 :: v_dual_cndmask_b32 v36, v48, v104, s6
	v_dual_cndmask_b32 v32, v108, v106, s2 :: v_dual_cndmask_b32 v37, v51, v3, s6
	v_cndmask_b32_e64 v30, v38, 0, s3
	v_cndmask_b32_e64 v33, v40, v69, s6
	v_dual_cndmask_b32 v35, v47, v105, s6 :: v_dual_cndmask_b32 v38, v52, v2, s6
	v_cndmask_b32_e64 v31, v31, 0, s3
	s_delay_alu instid0(VALU_DEP_4) | instskip(NEXT) | instid1(VALU_DEP_4)
	v_cndmask_b32_e64 v30, v30, 0, s5
	v_cndmask_b32_e64 v33, v33, 0, s3
	v_cndmask_b32_e64 v34, v34, 0, s3
	v_cndmask_b32_e64 v35, v35, 0, s3
	v_cndmask_b32_e64 v36, v36, 0, s3
	v_cndmask_b32_e64 v37, v37, 0, s3
	v_cndmask_b32_e64 v38, v38, 0, s3
	v_cmp_eq_u32_e64 s3, 5, v134
	v_cndmask_b32_e64 v31, v31, 0, s5
	v_cndmask_b32_e64 v33, v33, 0, s5
	v_cndmask_b32_e64 v34, v34, 0, s5
	v_cndmask_b32_e64 v35, v35, 0, s5
	v_cndmask_b32_e64 v30, v30, 0, s3
	v_cndmask_b32_e64 v36, v36, 0, s5
	v_cndmask_b32_e64 v37, v37, 0, s5
	v_cndmask_b32_e64 v38, v38, 0, s5
	v_cmp_eq_u32_e64 s5, 6, v134
	v_cndmask_b32_e64 v31, v31, 0, s3
	;; [unrolled: 9-line block ×3, first 2 shown]
	v_cmp_eq_u32_e64 s6, 8, v134
	v_cndmask_b32_e64 v33, v33, 0, s5
	v_cndmask_b32_e64 v34, v34, 0, s5
	v_cndmask_b32_e64 v30, v30, 0, s3
	v_cndmask_b32_e64 v40, v31, 0, s3
	v_cndmask_b32_e64 v35, v35, 0, s5
	v_cndmask_b32_e64 v36, v36, 0, s5
	v_cndmask_b32_e64 v37, v37, 0, s5
	v_cndmask_b32_e64 v38, v38, 0, s5
	v_cndmask_b32_e64 v31, v30, 0, s6
	v_cndmask_b32_e64 v33, v33, 0, s3
	v_cndmask_b32_e64 v34, v34, 0, s3
	v_cndmask_b32_e64 v30, v40, 0, s6
	v_cndmask_b32_e64 v35, v35, 0, s3
	v_cndmask_b32_e64 v36, v36, 0, s3
	v_cndmask_b32_e64 v21, v33, 0, s6
	v_cndmask_b32_e64 v20, v34, 0, s6
	v_fmac_f64_e32 v[124:125], v[30:31], v[26:27]
	v_cndmask_b32_e64 v30, v37, 0, s3
	v_cndmask_b32_e64 v31, v38, 0, s3
	;; [unrolled: 1-line block ×4, first 2 shown]
	v_fmac_f64_e32 v[18:19], v[20:21], v[26:27]
	v_cndmask_b32_e64 v21, v30, 0, s6
	v_cndmask_b32_e64 v20, v31, 0, s6
	;; [unrolled: 1-line block ×3, first 2 shown]
	v_fmac_f64_e32 v[120:121], v[28:29], v[26:27]
	v_dual_cndmask_b32 v28, v118, v116, s1 :: v_dual_cndmask_b32 v29, v119, v117, s2
	v_cndmask_b32_e64 v30, v118, v116, s2
	v_fmac_f64_e32 v[128:129], v[20:21], v[26:27]
	v_dual_cndmask_b32 v20, v55, v110, s4 :: v_dual_cndmask_b32 v21, v56, v110, vcc_lo
	v_dual_cndmask_b32 v31, v57, v69, s4 :: v_dual_cndmask_b32 v34, v59, v68, s4
	v_dual_cndmask_b32 v35, v60, v69 :: v_dual_cndmask_b32 v36, v61, v68
	v_dual_cndmask_b32 v40, v49, v105, vcc_lo :: v_dual_cndmask_b32 v32, v32, v104, vcc_lo
	v_dual_cndmask_b32 v33, v33, v3, s4 :: v_dual_cndmask_b32 v28, v28, v2, s4
	v_dual_cndmask_b32 v29, v29, v3 :: v_dual_cndmask_b32 v30, v30, v2
	v_cmp_eq_u32_e32 vcc_lo, 3, v136
	v_cmp_eq_u32_e64 s1, 3, v137
	v_add_f64_e64 v[26:27], -v[10:11], 1.0
	v_dual_cndmask_b32 v37, v45, v105, s4 :: v_dual_cndmask_b32 v38, v46, v104, s4
	v_cmp_eq_u32_e64 s2, 4, v136
	v_dual_cndmask_b32 v41, v41, v125 :: v_dual_cndmask_b32 v20, v20, v124
	v_dual_cndmask_b32 v42, v42, v125, s1 :: v_dual_cndmask_b32 v21, v21, v124, s1
	v_cmp_eq_u32_e64 s3, 4, v137
	v_dual_cndmask_b32 v31, v31, v19 :: v_dual_cndmask_b32 v34, v34, v18
	v_dual_cndmask_b32 v35, v35, v19, s1 :: v_dual_cndmask_b32 v36, v36, v18, s1
	v_cndmask_b32_e64 v40, v40, v121, s1
	v_dual_cndmask_b32 v32, v32, v120, s1 :: v_dual_cndmask_b32 v37, v37, v121, vcc_lo
	v_cndmask_b32_e32 v38, v38, v120, vcc_lo
	v_dual_cndmask_b32 v28, v28, v128, vcc_lo :: v_dual_cndmask_b32 v29, v29, v129, s1
	v_dual_cndmask_b32 v30, v30, v128, s1 :: v_dual_cndmask_b32 v33, v33, v129, vcc_lo
	v_cmp_eq_u32_e32 vcc_lo, 5, v136
	v_cndmask_b32_e64 v20, v20, 0, s2
	v_cndmask_b32_e64 v42, v42, 0, s3
	v_cmp_eq_u32_e64 s1, 5, v137
	v_cndmask_b32_e64 v21, v21, 0, s3
	v_cndmask_b32_e64 v31, v31, 0, s2
	;; [unrolled: 1-line block ×10, first 2 shown]
	v_cndmask_b32_e64 v45, v20, 0, vcc_lo
	v_cndmask_b32_e64 v20, v42, 0, s1
	v_cmp_eq_u32_e64 s3, 6, v137
	v_cndmask_b32_e64 v21, v21, 0, s1
	v_cndmask_b32_e64 v42, v31, 0, vcc_lo
	v_cndmask_b32_e64 v30, v35, 0, s1
	v_cndmask_b32_e64 v31, v36, 0, s1
	;; [unrolled: 1-line block ×9, first 2 shown]
	v_cmp_eq_u32_e64 s1, 7, v137
	v_cndmask_b32_e64 v21, v21, 0, s3
	v_cndmask_b32_e64 v30, v30, 0, s3
	;; [unrolled: 1-line block ×7, first 2 shown]
	v_cndmask_b32_e64 v35, v37, 0, vcc_lo
	v_cndmask_b32_e64 v36, v38, 0, vcc_lo
	v_cndmask_b32_e64 v20, v20, 0, s1
	v_cmp_eq_u32_e64 s3, 8, v137
	v_cndmask_b32_e64 v37, v21, 0, s1
	v_cndmask_b32_e64 v30, v30, 0, s1
	;; [unrolled: 1-line block ×15, first 2 shown]
	v_mul_f64_e32 v[126:127], v[26:27], v[20:21]
	v_mul_f64_e32 v[20:21], v[26:27], v[28:29]
	v_mul_f64_e32 v[122:123], v[26:27], v[30:31]
	v_cndmask_b32_e64 v41, v41, 0, s2
	v_mul_f64_e32 v[130:131], v[26:27], v[32:33]
	v_cndmask_b32_e64 v34, v34, 0, s2
	v_cmp_eq_u32_e64 s2, 6, v136
	v_cndmask_b32_e64 v37, v43, 0, vcc_lo
	v_cndmask_b32_e64 v41, v41, 0, vcc_lo
	;; [unrolled: 1-line block ×4, first 2 shown]
	v_cmp_eq_u32_e32 vcc_lo, 7, v136
	v_cndmask_b32_e64 v28, v45, 0, s2
	v_cndmask_b32_e64 v27, v41, 0, s2
	;; [unrolled: 1-line block ×8, first 2 shown]
	v_cndmask_b32_e64 v27, v27, 0, vcc_lo
	v_cmp_eq_u32_e64 s1, 8, v136
	v_cndmask_b32_e64 v28, v28, 0, vcc_lo
	v_cndmask_b32_e64 v29, v29, 0, vcc_lo
	;; [unrolled: 1-line block ×7, first 2 shown]
	v_cndmask_b32_e64 v27, v27, 0, s1
	v_cndmask_b32_e64 v26, v28, 0, s1
	;; [unrolled: 1-line block ×8, first 2 shown]
	v_fmac_f64_e32 v[126:127], v[10:11], v[26:27]
	v_fmac_f64_e32 v[20:21], v[10:11], v[28:29]
	;; [unrolled: 1-line block ×3, first 2 shown]
	v_dual_mov_b32 v26, v70 :: v_dual_mov_b32 v27, v70
	v_fmac_f64_e32 v[130:131], v[10:11], v[32:33]
	v_dual_mov_b32 v28, v70 :: v_dual_mov_b32 v29, v70
	v_dual_mov_b32 v55, v70 :: v_dual_mov_b32 v60, v70
	;; [unrolled: 1-line block ×10, first 2 shown]
	v_mov_b32_e32 v61, v70
.LBB0_5:
	s_wait_xcnt 0x0
	s_or_b32 exec_lo, exec_lo, s9
	s_mov_b32 s1, 0
	scratch_store_b32 off, v138, off
	s_branch .LBB0_7
.LBB0_6:                                ;   in Loop: Header=BB0_7 Depth=1
	s_wait_xcnt 0x0
	s_or_b32 exec_lo, exec_lo, s3
	s_wait_dscnt 0x0
	v_cmp_gt_i32_e32 vcc_lo, 0, v32
	v_mov_b32_e32 v70, v32
	s_or_b32 s1, vcc_lo, s1
	s_delay_alu instid0(SALU_CYCLE_1)
	s_and_not1_b32 exec_lo, exec_lo, s1
	s_cbranch_execz .LBB0_13
.LBB0_7:                                ; =>This Inner Loop Header: Depth=1
	s_delay_alu instid0(VALU_DEP_1) | instskip(SKIP_2) | instid1(VALU_DEP_1)
	v_lshlrev_b32_e32 v32, 2, v70
	s_mov_b32 s2, 0
	s_mov_b32 s3, exec_lo
	v_add_nc_u32_e32 v33, v133, v32
	s_delay_alu instid0(VALU_DEP_1)
	v_add_nc_u32_e32 v32, v33, v32
	ds_load_b64 v[34:35], v32
	ds_load_b32 v32, v33 offset:40
	s_wait_dscnt 0x1
	s_wait_xcnt 0x0
	v_cmpx_ngt_f64_e32 0, v[34:35]
	s_xor_b32 s3, exec_lo, s3
	s_cbranch_execnz .LBB0_10
; %bb.8:                                ;   in Loop: Header=BB0_7 Depth=1
	s_or_saveexec_b32 s3, s3
	v_mov_b32_e32 v34, 0
	s_xor_b32 exec_lo, exec_lo, s3
	s_cbranch_execnz .LBB0_11
.LBB0_9:                                ;   in Loop: Header=BB0_7 Depth=1
	s_or_b32 exec_lo, exec_lo, s3
	s_and_saveexec_b32 s3, s2
	s_cbranch_execz .LBB0_6
	s_branch .LBB0_12
.LBB0_10:                               ;   in Loop: Header=BB0_7 Depth=1
	scratch_load_b32 v33, off, off
	s_wait_loadcnt 0x0
	v_cmp_eq_u32_e32 vcc_lo, -1, v33
                                        ; implicit-def: $vgpr33
	s_and_b32 s2, vcc_lo, exec_lo
	s_wait_xcnt 0x0
	s_or_saveexec_b32 s3, s3
	v_mov_b32_e32 v34, 0
	s_xor_b32 exec_lo, exec_lo, s3
	s_cbranch_execz .LBB0_9
.LBB0_11:                               ;   in Loop: Header=BB0_7 Depth=1
	scratch_load_b32 v35, off, off offset:4
	v_mov_b32_e32 v34, 4
	s_or_b32 s2, s2, exec_lo
	s_wait_loadcnt 0x0
	ds_store_b32 v33, v35 offset:40
	s_wait_xcnt 0x0
	s_or_b32 exec_lo, exec_lo, s3
	s_and_saveexec_b32 s3, s2
	s_cbranch_execz .LBB0_6
.LBB0_12:                               ;   in Loop: Header=BB0_7 Depth=1
	scratch_store_b32 v34, v70, off
	s_branch .LBB0_6
.LBB0_13:
	s_or_b32 exec_lo, exec_lo, s1
	s_and_saveexec_b32 s1, s0
	s_cbranch_execz .LBB0_15
; %bb.14:
	v_cmp_gt_f64_e32 vcc_lo, 0, v[0:1]
	v_lshl_add_u32 v0, v134, 2, v133
	v_lshl_add_u32 v1, v140, 2, v133
	;; [unrolled: 1-line block ×3, first 2 shown]
	s_or_b32 s0, s8, vcc_lo
	s_delay_alu instid0(SALU_CYCLE_1)
	v_cndmask_b32_e64 v32, v135, -1, s0
	ds_store_b32 v0, v140 offset:40
	ds_store_b32 v1, v141 offset:40
	;; [unrolled: 1-line block ×3, first 2 shown]
.LBB0_15:
	s_or_b32 exec_lo, exec_lo, s1
	scratch_load_b32 v38, off, off
	v_mov_b64_e32 v[34:35], -1
	s_mov_b32 s31, 0
	v_dual_mov_b32 v39, -1 :: v_dual_mov_b32 v40, -1
	s_wait_loadcnt 0x0
	v_cmp_eq_u32_e32 vcc_lo, 1, v38
	v_cmp_eq_u32_e64 s0, 2, v38
	v_dual_cndmask_b32 v0, v115, v113 :: v_dual_cndmask_b32 v1, v114, v112
	v_cmp_eq_u32_e32 vcc_lo, 3, v38
	s_delay_alu instid0(VALU_DEP_2) | instskip(SKIP_1) | instid1(VALU_DEP_2)
	v_dual_cndmask_b32 v0, v0, v111, s0 :: v_dual_cndmask_b32 v1, v1, v110, s0
	v_cmp_lt_i32_e64 s0, -1, v38
	v_dual_cndmask_b32 v0, v0, v125 :: v_dual_cndmask_b32 v1, v1, v124
	v_cmp_eq_u32_e32 vcc_lo, 4, v38
	s_delay_alu instid0(VALU_DEP_2) | instskip(SKIP_1) | instid1(VALU_DEP_2)
	v_dual_cndmask_b32 v0, v0, v127 :: v_dual_cndmask_b32 v1, v1, v126
	v_cmp_eq_u32_e32 vcc_lo, 5, v38
	v_dual_cndmask_b32 v0, v0, v55 :: v_dual_cndmask_b32 v1, v1, v58
	v_cmp_eq_u32_e32 vcc_lo, 6, v38
	s_delay_alu instid0(VALU_DEP_2) | instskip(SKIP_1) | instid1(VALU_DEP_2)
	v_dual_cndmask_b32 v0, v0, v53 :: v_dual_cndmask_b32 v1, v1, v60
	v_cmp_eq_u32_e32 vcc_lo, 7, v38
	v_dual_cndmask_b32 v0, v0, v51, vcc_lo :: v_dual_cndmask_b32 v32, v1, v62, vcc_lo
	v_cmp_eq_u32_e32 vcc_lo, 8, v38
	s_delay_alu instid0(VALU_DEP_2) | instskip(NEXT) | instid1(VALU_DEP_3)
	v_cndmask_b32_e32 v1, v0, v31, vcc_lo
	v_cndmask_b32_e32 v0, v32, v30, vcc_lo
	v_mov_b64_e32 v[32:33], -1
	s_wait_xcnt 0x0
	s_and_saveexec_b32 s5, s0
	s_cbranch_execz .LBB0_19
; %bb.16:
	v_mov_b64_e32 v[36:37], v[0:1]
	v_dual_mov_b32 v39, -1 :: v_dual_mov_b32 v33, v38
	v_dual_mov_b32 v32, -1 :: v_dual_mov_b32 v34, -1
	v_mov_b32_e32 v40, -1
	s_mov_b32 s6, 0
                                        ; implicit-def: $sgpr7
.LBB0_17:                               ; =>This Inner Loop Header: Depth=1
	s_delay_alu instid0(VALU_DEP_3)
	v_lshl_add_u32 v35, v33, 2, v133
	v_cmp_le_f64_e32 vcc_lo, 0, v[36:37]
	v_cmp_gt_f64_e64 s1, 0, v[36:37]
	ds_load_b32 v35, v35 offset:40
	s_wait_dscnt 0x0
	v_cmp_gt_i32_e64 s2, 0, v35
	s_delay_alu instid0(VALU_DEP_1) | instskip(NEXT) | instid1(VALU_DEP_1)
	v_cndmask_b32_e64 v41, v35, v38, s2
	v_cmp_eq_u32_e64 s3, 1, v41
	v_cmp_eq_u32_e64 s4, 2, v41
	s_delay_alu instid0(VALU_DEP_2) | instskip(NEXT) | instid1(VALU_DEP_1)
	v_dual_cndmask_b32 v36, v115, v113, s3 :: v_dual_cndmask_b32 v37, v114, v112, s3
	v_cndmask_b32_e64 v36, v36, v111, s4
	v_cmp_eq_u32_e64 s3, 3, v41
	s_delay_alu instid0(VALU_DEP_1) | instskip(NEXT) | instid1(VALU_DEP_1)
	v_dual_cndmask_b32 v37, v37, v110, s4 :: v_dual_cndmask_b32 v36, v36, v125, s3
	v_cndmask_b32_e64 v37, v37, v124, s3
	v_cmp_eq_u32_e64 s3, 4, v41
	s_delay_alu instid0(VALU_DEP_1) | instskip(SKIP_1) | instid1(VALU_DEP_1)
	v_dual_cndmask_b32 v36, v36, v127, s3 :: v_dual_cndmask_b32 v37, v37, v126, s3
	v_cmp_eq_u32_e64 s3, 5, v41
	v_dual_cndmask_b32 v36, v36, v55, s3 :: v_dual_cndmask_b32 v37, v37, v58, s3
	v_cmp_eq_u32_e64 s3, 6, v41
	s_delay_alu instid0(VALU_DEP_1) | instskip(SKIP_1) | instid1(VALU_DEP_1)
	v_dual_cndmask_b32 v36, v36, v53, s3 :: v_dual_cndmask_b32 v37, v37, v60, s3
	v_cmp_eq_u32_e64 s3, 7, v41
	v_dual_cndmask_b32 v36, v36, v51, s3 :: v_dual_cndmask_b32 v42, v37, v62, s3
	v_cmp_eq_u32_e64 s3, 8, v41
	s_delay_alu instid0(VALU_DEP_1) | instskip(NEXT) | instid1(VALU_DEP_1)
	v_dual_cndmask_b32 v37, v36, v31, s3 :: v_dual_cndmask_b32 v36, v42, v30, s3
	v_cmp_gt_f64_e64 s3, 0, v[36:37]
	v_cmp_le_f64_e64 s4, 0, v[36:37]
	s_and_b32 vcc_lo, vcc_lo, s3
	s_and_b32 s3, s1, s4
	s_delay_alu instid0(SALU_CYCLE_1)
	v_dual_cndmask_b32 v34, v34, v41, vcc_lo :: v_dual_cndmask_b32 v40, v40, v41, s3
	v_dual_cndmask_b32 v39, v39, v33, vcc_lo :: v_dual_cndmask_b32 v32, v32, v33, s3
	s_or_b32 s6, s2, s6
	v_mov_b32_e32 v33, v35
	s_and_not1_b32 s2, s7, exec_lo
	s_and_b32 s1, s1, exec_lo
	s_delay_alu instid0(SALU_CYCLE_1)
	s_or_b32 s7, s2, s1
	s_and_not1_b32 exec_lo, exec_lo, s6
	s_cbranch_execnz .LBB0_17
; %bb.18:
	s_or_b32 exec_lo, exec_lo, s6
	s_delay_alu instid0(SALU_CYCLE_1)
	s_and_b32 s31, s7, exec_lo
.LBB0_19:
	s_or_b32 exec_lo, exec_lo, s5
	v_dual_mov_b32 v35, -1 :: v_dual_mov_b32 v33, -1
	v_cmp_lt_i32_e64 s1, -1, v39
	v_mov_b32_e32 v75, -1
	s_and_saveexec_b32 s33, s1
	s_cbranch_execz .LBB0_21
; %bb.20:
	v_cmp_eq_u32_e64 s9, 1, v34
	v_cmp_eq_u32_e64 s10, 2, v34
	;; [unrolled: 1-line block ×5, first 2 shown]
	v_cndmask_b32_e64 v33, v115, v113, s9
	v_cmp_eq_u32_e64 s14, 6, v34
	v_cmp_eq_u32_e64 s15, 7, v34
	;; [unrolled: 1-line block ×3, first 2 shown]
	s_delay_alu instid0(VALU_DEP_4) | instskip(SKIP_3) | instid1(VALU_DEP_4)
	v_dual_cndmask_b32 v34, v114, v112, s9 :: v_dual_cndmask_b32 v33, v33, v111, s10
	v_cmp_eq_u32_e64 s17, 1, v39
	v_cmp_eq_u32_e64 s18, 2, v39
	;; [unrolled: 1-line block ×3, first 2 shown]
	v_dual_cndmask_b32 v34, v34, v110, s10 :: v_dual_cndmask_b32 v33, v33, v125, s11
	v_cmp_eq_u32_e64 s20, 4, v39
	v_cmp_eq_u32_e64 s21, 5, v39
	;; [unrolled: 1-line block ×3, first 2 shown]
	s_delay_alu instid0(VALU_DEP_4) | instskip(SKIP_2) | instid1(VALU_DEP_3)
	v_dual_cndmask_b32 v34, v34, v124, s11 :: v_dual_cndmask_b32 v33, v33, v127, s12
	v_cmp_eq_u32_e64 s23, 7, v39
	v_cmp_eq_u32_e64 s24, 8, v39
	v_dual_cndmask_b32 v41, v13, v15, s9 :: v_dual_cndmask_b32 v34, v34, v126, s12
	s_delay_alu instid0(VALU_DEP_4) | instskip(NEXT) | instid1(VALU_DEP_2)
	v_cndmask_b32_e64 v33, v33, v55, s13
	v_dual_cndmask_b32 v41, v41, v17, s10 :: v_dual_cndmask_b32 v34, v34, v58, s13
	s_delay_alu instid0(VALU_DEP_2) | instskip(NEXT) | instid1(VALU_DEP_2)
	v_cndmask_b32_e64 v33, v33, v53, s14
	v_dual_cndmask_b32 v41, v41, v19, s11 :: v_dual_cndmask_b32 v34, v34, v60, s14
	s_delay_alu instid0(VALU_DEP_2) | instskip(NEXT) | instid1(VALU_DEP_2)
	;; [unrolled: 3-line block ×3, first 2 shown]
	v_dual_cndmask_b32 v37, v33, v31, s16 :: v_dual_cndmask_b32 v33, v115, v113, s17
	v_dual_cndmask_b32 v41, v41, v23, s13 :: v_dual_cndmask_b32 v36, v34, v30, s16
	s_delay_alu instid0(VALU_DEP_2) | instskip(NEXT) | instid1(VALU_DEP_2)
	v_dual_cndmask_b32 v34, v114, v112, s17 :: v_dual_cndmask_b32 v33, v33, v111, s18
	v_cndmask_b32_e64 v41, v41, v25, s14
	s_delay_alu instid0(VALU_DEP_3) | instskip(NEXT) | instid1(VALU_DEP_3)
	v_add_f64_e64 v[64:65], -v[36:37], 0
	v_dual_cndmask_b32 v34, v34, v110, s18 :: v_dual_cndmask_b32 v33, v33, v125, s19
	s_delay_alu instid0(VALU_DEP_1) | instskip(NEXT) | instid1(VALU_DEP_1)
	v_dual_cndmask_b32 v34, v34, v124, s19 :: v_dual_cndmask_b32 v33, v33, v127, s20
	v_dual_cndmask_b32 v34, v34, v126, s20 :: v_dual_cndmask_b32 v33, v33, v55, s21
	s_delay_alu instid0(VALU_DEP_1) | instskip(NEXT) | instid1(VALU_DEP_1)
	v_dual_cndmask_b32 v34, v34, v58, s21 :: v_dual_cndmask_b32 v33, v33, v53, s22
	v_dual_cndmask_b32 v34, v34, v60, s22 :: v_dual_cndmask_b32 v33, v33, v51, s23
	s_delay_alu instid0(VALU_DEP_1) | instskip(SKIP_4) | instid1(VALU_DEP_2)
	v_dual_cndmask_b32 v34, v34, v62, s23 :: v_dual_cndmask_b32 v43, v33, v31, s24
	scratch_load_b32 v33, off, off offset:4
	v_cndmask_b32_e64 v42, v34, v30, s24
	s_wait_loadcnt 0x0
	v_cmp_eq_u32_e64 s3, 6, v33
	v_add_f64_e64 v[66:67], v[42:43], -v[36:37]
	v_cmp_eq_u32_e64 s25, 7, v33
	v_cmp_eq_u32_e64 s2, 5, v33
	v_cmp_eq_u32_e64 s6, 1, v33
	v_cmp_eq_u32_e64 s7, 0, v33
	v_cmp_eq_u32_e64 s5, 2, v33
	v_cmp_eq_u32_e64 s4, 3, v33
	v_cmp_eq_u32_e64 s8, 4, v33
	v_div_scale_f64 v[68:69], null, v[66:67], v[66:67], v[64:65]
	s_delay_alu instid0(VALU_DEP_1) | instskip(SKIP_1) | instid1(TRANS32_DEP_1)
	v_rcp_f64_e32 v[70:71], v[68:69]
	v_nop
	v_fma_f64 v[72:73], -v[68:69], v[70:71], 1.0
	s_delay_alu instid0(VALU_DEP_1) | instskip(NEXT) | instid1(VALU_DEP_1)
	v_fmac_f64_e32 v[70:71], v[70:71], v[72:73]
	v_fma_f64 v[72:73], -v[68:69], v[70:71], 1.0
	s_delay_alu instid0(VALU_DEP_1) | instskip(SKIP_1) | instid1(VALU_DEP_1)
	v_fmac_f64_e32 v[70:71], v[70:71], v[72:73]
	v_div_scale_f64 v[72:73], vcc_lo, v[64:65], v[66:67], v[64:65]
	v_mul_f64_e32 v[74:75], v[72:73], v[70:71]
	s_delay_alu instid0(VALU_DEP_1) | instskip(NEXT) | instid1(VALU_DEP_1)
	v_fma_f64 v[68:69], -v[68:69], v[74:75], v[72:73]
	v_div_fmas_f64 v[68:69], v[68:69], v[70:71], v[74:75]
	v_cmp_eq_u32_e32 vcc_lo, 8, v33
	s_delay_alu instid0(VALU_DEP_2) | instskip(NEXT) | instid1(VALU_DEP_1)
	v_div_fixup_f64 v[76:77], v[68:69], v[66:67], v[64:65]
	v_add_f64_e64 v[78:79], -v[76:77], 1.0
	s_delay_alu instid0(VALU_DEP_1) | instskip(NEXT) | instid1(VALU_DEP_1)
	v_mul_f64_e32 v[74:75], v[36:37], v[78:79]
	v_fmac_f64_e32 v[74:75], v[42:43], v[76:77]
	v_cndmask_b32_e64 v42, v12, v14, s9
	s_delay_alu instid0(VALU_DEP_1) | instskip(NEXT) | instid1(VALU_DEP_1)
	v_cndmask_b32_e64 v42, v42, v16, s10
	v_cndmask_b32_e64 v42, v42, v18, s11
	s_delay_alu instid0(VALU_DEP_1) | instskip(NEXT) | instid1(VALU_DEP_1)
	v_cndmask_b32_e64 v42, v42, v20, s12
	v_cndmask_b32_e64 v42, v42, v22, s13
	s_delay_alu instid0(VALU_DEP_1) | instskip(NEXT) | instid1(VALU_DEP_1)
	v_dual_cndmask_b32 v42, v42, v24, s14 :: v_dual_cndmask_b32 v41, v41, v27, s15
	v_cndmask_b32_e64 v42, v42, v26, s15
	v_cndmask_b32_e32 v30, v30, v74, vcc_lo
	v_cndmask_b32_e64 v34, v62, v74, s25
	s_delay_alu instid0(VALU_DEP_4) | instskip(NEXT) | instid1(VALU_DEP_4)
	v_dual_cndmask_b32 v37, v58, v74, s2 :: v_dual_cndmask_b32 v43, v41, v29, s16
	v_dual_cndmask_b32 v42, v42, v28, s16 :: v_dual_cndmask_b32 v41, v13, v15, s17
	;; [unrolled: 1-line block ×4, first 2 shown]
	v_cndmask_b32_e64 v53, v53, v75, s3
	s_delay_alu instid0(VALU_DEP_3) | instskip(SKIP_2) | instid1(VALU_DEP_3)
	v_dual_cndmask_b32 v41, v41, v17, s18 :: v_dual_cndmask_b32 v58, v58, v16, s18
	v_mul_f64_e32 v[80:81], v[42:43], v[78:79]
	v_dual_cndmask_b32 v43, v110, v74, s5 :: v_dual_cndmask_b32 v113, v113, v75, s6
	v_dual_cndmask_b32 v41, v41, v19, s19 :: v_dual_cndmask_b32 v58, v58, v18, s19
	v_dual_cndmask_b32 v42, v124, v74, s4 :: v_dual_cndmask_b32 v31, v31, v75, vcc_lo
	s_delay_alu instid0(VALU_DEP_2) | instskip(NEXT) | instid1(VALU_DEP_1)
	v_dual_cndmask_b32 v41, v41, v21, s20 :: v_dual_cndmask_b32 v58, v58, v20, s20
	v_dual_cndmask_b32 v41, v41, v23, s21 :: v_dual_cndmask_b32 v58, v58, v22, s21
	s_delay_alu instid0(VALU_DEP_1) | instskip(NEXT) | instid1(VALU_DEP_1)
	v_dual_cndmask_b32 v41, v41, v25, s22 :: v_dual_cndmask_b32 v58, v58, v24, s22
	v_dual_cndmask_b32 v41, v41, v27, s23 :: v_dual_cndmask_b32 v58, v58, v26, s23
	s_delay_alu instid0(VALU_DEP_1) | instskip(SKIP_2) | instid1(VALU_DEP_3)
	v_dual_cndmask_b32 v65, v41, v29, s24 :: v_dual_cndmask_b32 v64, v58, v28, s24
	v_dual_cndmask_b32 v58, v112, v74, s6 :: v_dual_cndmask_b32 v112, v127, v75, s8
	v_cndmask_b32_e64 v41, v126, v74, s8
	v_fmac_f64_e32 v[80:81], v[64:65], v[76:77]
	v_dual_cndmask_b32 v60, v114, v74, s7 :: v_dual_cndmask_b32 v114, v115, v75, s7
	s_delay_alu instid0(VALU_DEP_2) | instskip(NEXT) | instid1(VALU_DEP_3)
	v_dual_cndmask_b32 v115, v125, v75, s4 :: v_dual_cndmask_b32 v64, v14, v80, s6
	v_dual_cndmask_b32 v62, v12, v80, s7 :: v_dual_cndmask_b32 v67, v13, v81, s7
	;; [unrolled: 1-line block ×5, first 2 shown]
	v_dual_cndmask_b32 v28, v28, v80, vcc_lo :: v_dual_cndmask_b32 v73, v21, v81, s8
	v_dual_cndmask_b32 v72, v19, v81, s4 :: v_dual_cndmask_b32 v70, v22, v80, s2
	v_dual_cndmask_b32 v68, v20, v80, s8 :: v_dual_cndmask_b32 v25, v25, v81, s3
	;; [unrolled: 1-line block ×3, first 2 shown]
	v_dual_cndmask_b32 v24, v24, v80, s3 :: v_dual_cndmask_b32 v29, v29, v81, vcc_lo
	v_cndmask_b32_e64 v27, v27, v81, s25
	v_dual_cndmask_b32 v12, v12, v105, s10 :: v_dual_cndmask_b32 v13, v13, v104, s10
	s_delay_alu instid0(VALU_DEP_1) | instskip(NEXT) | instid1(VALU_DEP_1)
	v_dual_cndmask_b32 v17, v118, v116, s17 :: v_dual_cndmask_b32 v12, v12, v121, s11
	v_dual_cndmask_b32 v13, v13, v120, s11 :: v_dual_cndmask_b32 v12, v12, v123, s12
	s_delay_alu instid0(VALU_DEP_1) | instskip(NEXT) | instid1(VALU_DEP_1)
	v_dual_cndmask_b32 v13, v13, v122, s12 :: v_dual_cndmask_b32 v12, v12, v45, s13
	;; [unrolled: 3-line block ×4, first 2 shown]
	v_dual_cndmask_b32 v14, v14, v105, s18 :: v_dual_cndmask_b32 v15, v108, v106, s17
	s_delay_alu instid0(VALU_DEP_1) | instskip(NEXT) | instid1(VALU_DEP_1)
	v_dual_mul_f64 v[12:13], v[12:13], v[78:79] :: v_dual_cndmask_b32 v14, v14, v121, s19
	v_dual_cndmask_b32 v15, v15, v104, s18 :: v_dual_cndmask_b32 v14, v14, v123, s20
	s_delay_alu instid0(VALU_DEP_1) | instskip(NEXT) | instid1(VALU_DEP_1)
	v_dual_cndmask_b32 v15, v15, v120, s19 :: v_dual_cndmask_b32 v14, v14, v45, s21
	v_dual_cndmask_b32 v15, v15, v122, s20 :: v_dual_cndmask_b32 v14, v14, v49, s22
	s_delay_alu instid0(VALU_DEP_1) | instskip(NEXT) | instid1(VALU_DEP_1)
	v_dual_cndmask_b32 v15, v15, v10, s21 :: v_dual_cndmask_b32 v14, v14, v59, s23
	v_cndmask_b32_e64 v15, v15, v48, s22
	s_delay_alu instid0(VALU_DEP_1) | instskip(NEXT) | instid1(VALU_DEP_1)
	v_dual_cndmask_b32 v16, v15, v46, s23 :: v_dual_cndmask_b32 v15, v14, v57, s24
	v_cndmask_b32_e64 v14, v16, v44, s24
	s_delay_alu instid0(VALU_DEP_1) | instskip(SKIP_2) | instid1(VALU_DEP_2)
	v_fmac_f64_e32 v[12:13], v[14:15], v[76:77]
	v_dual_cndmask_b32 v14, v119, v117, s9 :: v_dual_cndmask_b32 v15, v118, v116, s9
	v_cmp_eq_u32_e64 s9, 3, v40
	v_dual_cndmask_b32 v14, v14, v3, s10 :: v_dual_cndmask_b32 v15, v15, v2, s10
	v_cmp_eq_u32_e64 s10, 4, v40
	s_delay_alu instid0(VALU_DEP_2) | instskip(SKIP_1) | instid1(VALU_DEP_2)
	v_dual_cndmask_b32 v14, v14, v129, s11 :: v_dual_cndmask_b32 v15, v15, v128, s11
	v_cmp_eq_u32_e64 s11, 5, v40
	v_dual_cndmask_b32 v14, v14, v131, s12 :: v_dual_cndmask_b32 v15, v15, v130, s12
	v_cmp_eq_u32_e64 s12, 6, v40
	s_delay_alu instid0(VALU_DEP_2) | instskip(SKIP_1) | instid1(VALU_DEP_2)
	v_dual_cndmask_b32 v14, v14, v11, s13 :: v_dual_cndmask_b32 v15, v15, v56, s13
	v_cmp_eq_u32_e64 s13, 7, v40
	v_dual_cndmask_b32 v14, v14, v47, s14 :: v_dual_cndmask_b32 v15, v15, v54, s14
	v_cmp_eq_u32_e64 s14, 8, v40
	s_delay_alu instid0(VALU_DEP_2) | instskip(NEXT) | instid1(VALU_DEP_3)
	v_dual_cndmask_b32 v14, v14, v63, s15 :: v_dual_cndmask_b32 v45, v45, v13, s2
	v_cndmask_b32_e64 v16, v15, v52, s15
	v_cmp_eq_u32_e64 s15, 1, v32
	s_delay_alu instid0(VALU_DEP_3) | instskip(SKIP_1) | instid1(VALU_DEP_4)
	v_dual_cndmask_b32 v124, v111, v75, s5 :: v_dual_cndmask_b32 v15, v14, v61, s16
	v_dual_cndmask_b32 v44, v44, v12, vcc_lo :: v_dual_cndmask_b32 v46, v46, v12, s25
	v_dual_cndmask_b32 v14, v16, v50, s16 :: v_dual_cndmask_b32 v16, v119, v117, s17
	v_cmp_eq_u32_e64 s16, 2, v32
	v_cmp_eq_u32_e64 s17, 4, v32
	v_dual_cndmask_b32 v57, v57, v13, vcc_lo :: v_dual_cndmask_b32 v48, v48, v12, s3
	s_delay_alu instid0(VALU_DEP_4)
	v_dual_cndmask_b32 v10, v10, v12, s2 :: v_dual_cndmask_b32 v16, v16, v3, s18
	v_mul_f64_e32 v[14:15], v[14:15], v[78:79]
	v_dual_cndmask_b32 v59, v59, v13, s25 :: v_dual_cndmask_b32 v49, v49, v13, s3
	v_dual_cndmask_b32 v120, v120, v12, s4 :: v_dual_cndmask_b32 v121, v121, v13, s4
	;; [unrolled: 1-line block ×5, first 2 shown]
	v_cmp_eq_u32_e64 s18, 5, v32
	v_cndmask_b32_e64 v122, v122, v12, s8
	s_delay_alu instid0(VALU_DEP_3) | instskip(NEXT) | instid1(VALU_DEP_4)
	v_dual_cndmask_b32 v106, v106, v12, s6 :: v_dual_cndmask_b32 v16, v16, v131, s20
	v_cndmask_b32_e64 v17, v17, v128, s19
	v_cmp_eq_u32_e64 s19, 6, v32
	v_cndmask_b32_e64 v12, v67, v69, s15
	s_delay_alu instid0(VALU_DEP_4) | instskip(NEXT) | instid1(VALU_DEP_4)
	v_dual_cndmask_b32 v123, v123, v13, s8 :: v_dual_cndmask_b32 v16, v16, v11, s21
	v_cndmask_b32_e64 v17, v17, v130, s20
	v_cmp_eq_u32_e64 s20, 7, v32
	s_delay_alu instid0(VALU_DEP_2) | instskip(SKIP_1) | instid1(VALU_DEP_2)
	v_dual_cndmask_b32 v16, v16, v47, s22 :: v_dual_cndmask_b32 v17, v17, v56, s21
	v_cmp_eq_u32_e64 s21, 8, v32
	v_dual_cndmask_b32 v16, v16, v63, s23 :: v_dual_cndmask_b32 v17, v17, v54, s22
	v_cmp_eq_u32_e64 s22, 3, v32
	v_lshl_add_u32 v32, v33, 2, v133
	s_delay_alu instid0(VALU_DEP_3) | instskip(SKIP_1) | instid1(VALU_DEP_2)
	v_dual_cndmask_b32 v18, v17, v52, s23 :: v_dual_cndmask_b32 v17, v16, v61, s24
	v_cmp_eq_u32_e64 s23, 2, v40
	v_cndmask_b32_e64 v16, v18, v50, s24
	v_cmp_eq_u32_e64 s24, 1, v40
	s_delay_alu instid0(VALU_DEP_2) | instskip(SKIP_1) | instid1(VALU_DEP_3)
	v_fmac_f64_e32 v[14:15], v[16:17], v[76:77]
	v_dual_cndmask_b32 v16, v114, v113, s15 :: v_dual_cndmask_b32 v17, v60, v58, s15
	v_dual_cndmask_b32 v18, v114, v113, s24 :: v_dual_cndmask_b32 v19, v60, v58, s24
	s_delay_alu instid0(VALU_DEP_2) | instskip(NEXT) | instid1(VALU_DEP_2)
	v_dual_cndmask_b32 v109, v109, v13, s7 :: v_dual_cndmask_b32 v16, v16, v124, s16
	v_dual_cndmask_b32 v17, v17, v43, s16 :: v_dual_cndmask_b32 v18, v18, v124, s23
	s_delay_alu instid0(VALU_DEP_3) | instskip(NEXT) | instid1(VALU_DEP_2)
	v_dual_cndmask_b32 v19, v19, v43, s23 :: v_dual_cndmask_b32 v13, v62, v64, s15
	v_dual_cndmask_b32 v16, v16, v115, s22 :: v_dual_cndmask_b32 v17, v17, v42, s22
	s_delay_alu instid0(VALU_DEP_2) | instskip(NEXT) | instid1(VALU_DEP_3)
	v_dual_cndmask_b32 v18, v18, v115, s9 :: v_dual_cndmask_b32 v19, v19, v42, s9
	v_dual_cndmask_b32 v12, v12, v71, s16 :: v_dual_cndmask_b32 v13, v13, v65, s16
	s_delay_alu instid0(VALU_DEP_3) | instskip(NEXT) | instid1(VALU_DEP_3)
	v_dual_cndmask_b32 v16, v16, v112, s17 :: v_dual_cndmask_b32 v17, v17, v41, s17
	v_dual_cndmask_b32 v18, v18, v112, s10 :: v_dual_cndmask_b32 v19, v19, v41, s10
	s_delay_alu instid0(VALU_DEP_3) | instskip(NEXT) | instid1(VALU_DEP_3)
	;; [unrolled: 3-line block ×3, first 2 shown]
	v_dual_cndmask_b32 v18, v18, v55, s11 :: v_dual_cndmask_b32 v19, v19, v37, s11
	v_cndmask_b32_e64 v12, v12, v73, s17
	s_delay_alu instid0(VALU_DEP_3) | instskip(NEXT) | instid1(VALU_DEP_3)
	v_dual_cndmask_b32 v16, v16, v53, s19 :: v_dual_cndmask_b32 v17, v17, v36, s19
	v_dual_cndmask_b32 v18, v18, v53, s12 :: v_dual_cndmask_b32 v19, v19, v36, s12
	v_cndmask_b32_e64 v47, v47, v15, s3
	s_delay_alu instid0(VALU_DEP_3) | instskip(NEXT) | instid1(VALU_DEP_3)
	v_dual_cndmask_b32 v16, v16, v51, s20 :: v_dual_cndmask_b32 v17, v17, v34, s20
	v_dual_cndmask_b32 v20, v18, v51, s13 :: v_dual_cndmask_b32 v21, v19, v34, s13
	v_dual_cndmask_b32 v50, v50, v14, vcc_lo :: v_dual_cndmask_b32 v52, v52, v14, s25
	s_delay_alu instid0(VALU_DEP_3) | instskip(NEXT) | instid1(VALU_DEP_3)
	v_dual_cndmask_b32 v19, v16, v31, s21 :: v_dual_cndmask_b32 v18, v17, v30, s21
	v_dual_cndmask_b32 v17, v20, v31, s14 :: v_dual_cndmask_b32 v16, v21, v30, s14
	v_dual_cndmask_b32 v61, v61, v15, vcc_lo :: v_dual_cndmask_b32 v128, v128, v14, s4
	v_cndmask_b32_e64 v134, v2, v14, s5
	s_delay_alu instid0(VALU_DEP_4) | instskip(NEXT) | instid1(VALU_DEP_4)
	v_add_f64_e64 v[20:21], -v[18:19], 0
	v_add_f64_e64 v[22:23], v[16:17], -v[18:19]
	v_cndmask_b32_e64 v119, v119, v15, s7
	v_cndmask_b32_e64 v2, v67, v69, s24
	v_dual_cndmask_b32 v135, v3, v15, s5 :: v_dual_cndmask_b32 v3, v62, v64, s24
	v_dual_cndmask_b32 v131, v131, v15, s8 :: v_dual_cndmask_b32 v117, v117, v15, s6
	;; [unrolled: 1-line block ×4, first 2 shown]
	s_delay_alu instid0(VALU_DEP_3) | instskip(SKIP_3) | instid1(VALU_DEP_1)
	v_cndmask_b32_e64 v75, v119, v117, s24
	v_dual_cndmask_b32 v63, v63, v15, s25 :: v_dual_cndmask_b32 v130, v130, v14, s8
	v_dual_cndmask_b32 v11, v11, v15, s2 :: v_dual_cndmask_b32 v129, v129, v15, s4
	;; [unrolled: 1-line block ×4, first 2 shown]
	s_delay_alu instid0(VALU_DEP_1) | instskip(SKIP_1) | instid1(VALU_DEP_1)
	v_cndmask_b32_e64 v125, v15, v120, s9
	v_div_scale_f64 v[76:77], null, v[22:23], v[22:23], v[20:21]
	v_rcp_f64_e32 v[78:79], v[76:77]
	v_nop
	s_delay_alu instid0(TRANS32_DEP_1) | instskip(NEXT) | instid1(VALU_DEP_1)
	v_fma_f64 v[80:81], -v[76:77], v[78:79], 1.0
	v_fmac_f64_e32 v[78:79], v[78:79], v[80:81]
	s_delay_alu instid0(VALU_DEP_1) | instskip(NEXT) | instid1(VALU_DEP_1)
	v_fma_f64 v[80:81], -v[76:77], v[78:79], 1.0
	v_fmac_f64_e32 v[78:79], v[78:79], v[80:81]
	v_div_scale_f64 v[80:81], vcc_lo, v[20:21], v[22:23], v[20:21]
	s_delay_alu instid0(VALU_DEP_1) | instskip(NEXT) | instid1(VALU_DEP_1)
	v_mul_f64_e32 v[110:111], v[80:81], v[78:79]
	v_dual_fma_f64 v[76:77], -v[76:77], v[110:111], v[80:81] :: v_dual_cndmask_b32 v80, v3, v65, s23
	s_delay_alu instid0(VALU_DEP_1) | instskip(SKIP_3) | instid1(VALU_DEP_4)
	v_div_fmas_f64 v[76:77], v[76:77], v[78:79], v[110:111]
	v_cndmask_b32_e64 v79, v2, v71, s23
	v_dual_cndmask_b32 v78, v118, v116, s15 :: v_dual_cndmask_b32 v12, v12, v74, s18
	v_cndmask_b32_e64 v111, v14, v121, s9
	v_div_fixup_f64 v[20:21], v[76:77], v[22:23], v[20:21]
	v_dual_cndmask_b32 v76, v118, v116, s24 :: v_dual_cndmask_b32 v75, v75, v135, s23
	v_cndmask_b32_e64 v13, v13, v68, s17
	v_dual_cndmask_b32 v22, v109, v107, s15 :: v_dual_cndmask_b32 v23, v108, v106, s15
	s_delay_alu instid0(VALU_DEP_3) | instskip(NEXT) | instid1(VALU_DEP_2)
	v_dual_cndmask_b32 v77, v119, v117, s15 :: v_dual_cndmask_b32 v110, v76, v134, s23
	v_dual_cndmask_b32 v13, v13, v70, s18 :: v_dual_cndmask_b32 v22, v22, v105, s16
	s_delay_alu instid0(VALU_DEP_2) | instskip(SKIP_1) | instid1(VALU_DEP_3)
	v_dual_cndmask_b32 v23, v23, v104, s16 :: v_dual_cndmask_b32 v76, v77, v135, s16
	v_dual_cndmask_b32 v77, v78, v134, s16 :: v_dual_cndmask_b32 v78, v79, v72, s9
	;; [unrolled: 1-line block ×3, first 2 shown]
	v_cndmask_b32_e64 v12, v12, v25, s19
	s_delay_alu instid0(VALU_DEP_4) | instskip(NEXT) | instid1(VALU_DEP_4)
	v_dual_cndmask_b32 v14, v22, v121, s22 :: v_dual_cndmask_b32 v15, v23, v120, s22
	v_dual_cndmask_b32 v23, v76, v129, s22 :: v_dual_cndmask_b32 v80, v77, v128, s22
	s_delay_alu instid0(VALU_DEP_3) | instskip(NEXT) | instid1(VALU_DEP_3)
	v_dual_cndmask_b32 v78, v78, v73, s10 :: v_dual_cndmask_b32 v12, v12, v27, s20
	v_dual_cndmask_b32 v22, v13, v26, s20 :: v_dual_cndmask_b32 v14, v14, v123, s17
	s_delay_alu instid0(VALU_DEP_4) | instskip(SKIP_1) | instid1(VALU_DEP_3)
	v_cndmask_b32_e64 v15, v15, v122, s17
	v_cndmask_b32_e64 v75, v75, v129, s9
	v_dual_cndmask_b32 v13, v12, v29, s21 :: v_dual_cndmask_b32 v12, v22, v28, s21
	s_delay_alu instid0(VALU_DEP_4) | instskip(SKIP_1) | instid1(VALU_DEP_1)
	v_dual_cndmask_b32 v22, v79, v68, s10 :: v_dual_cndmask_b32 v14, v14, v45, s18
	v_add_f64_e64 v[2:3], -v[20:21], 1.0
	v_mul_f64_e32 v[12:13], v[12:13], v[2:3]
	v_mul_f64_e32 v[76:77], v[18:19], v[2:3]
	v_dual_cndmask_b32 v18, v23, v131, s17 :: v_dual_cndmask_b32 v19, v80, v130, s17
	v_cndmask_b32_e64 v23, v78, v74, s11
	s_delay_alu instid0(VALU_DEP_2) | instskip(NEXT) | instid1(VALU_DEP_3)
	v_dual_cndmask_b32 v15, v15, v10, s18 :: v_dual_cndmask_b32 v18, v18, v11, s18
	v_dual_cndmask_b32 v19, v19, v56, s18 :: v_dual_cndmask_b32 v22, v22, v70, s11
	s_delay_alu instid0(VALU_DEP_3) | instskip(NEXT) | instid1(VALU_DEP_3)
	v_cndmask_b32_e64 v23, v23, v25, s12
	v_dual_cndmask_b32 v14, v14, v49, s19 :: v_dual_cndmask_b32 v15, v15, v48, s19
	s_delay_alu instid0(VALU_DEP_4) | instskip(NEXT) | instid1(VALU_DEP_4)
	v_cndmask_b32_e64 v18, v18, v47, s19
	v_dual_cndmask_b32 v22, v22, v24, s12 :: v_dual_cndmask_b32 v19, v19, v54, s19
	s_delay_alu instid0(VALU_DEP_4) | instskip(NEXT) | instid1(VALU_DEP_4)
	v_cndmask_b32_e64 v23, v23, v27, s13
	v_dual_cndmask_b32 v14, v14, v59, s20 :: v_dual_cndmask_b32 v78, v15, v46, s20
	s_delay_alu instid0(VALU_DEP_3) | instskip(NEXT) | instid1(VALU_DEP_4)
	v_cndmask_b32_e64 v22, v22, v26, s13
	v_dual_cndmask_b32 v18, v18, v63, s20 :: v_dual_cndmask_b32 v79, v19, v52, s20
	s_delay_alu instid0(VALU_DEP_3) | instskip(NEXT) | instid1(VALU_DEP_4)
	v_cndmask_b32_e64 v15, v14, v57, s21
	v_dual_cndmask_b32 v14, v78, v44, s21 :: v_dual_cndmask_b32 v23, v23, v29, s14
	s_delay_alu instid0(VALU_DEP_4) | instskip(NEXT) | instid1(VALU_DEP_4)
	v_cndmask_b32_e64 v22, v22, v28, s14
	v_dual_cndmask_b32 v19, v18, v61, s21 :: v_dual_cndmask_b32 v18, v79, v50, s21
	s_delay_alu instid0(VALU_DEP_3)
	v_mul_f64_e32 v[78:79], v[14:15], v[2:3]
	v_dual_cndmask_b32 v14, v125, v122, s10 :: v_dual_cndmask_b32 v15, v75, v131, s10
	ds_load_b32 v75, v32 offset:40
	v_fmac_f64_e32 v[12:13], v[22:23], v[20:21]
	s_wait_dscnt 0x0
	v_cmp_eq_u32_e32 vcc_lo, 8, v75
	v_cmp_eq_u32_e64 s3, 6, v75
	v_cmp_eq_u32_e64 s2, 7, v75
	;; [unrolled: 1-line block ×7, first 2 shown]
	v_cndmask_b32_e32 v29, v29, v13, vcc_lo
	v_fmac_f64_e32 v[76:77], v[16:17], v[20:21]
	v_mul_f64_e32 v[80:81], v[18:19], v[2:3]
	v_dual_cndmask_b32 v3, v111, v123, s10 :: v_dual_cndmask_b32 v2, v110, v128, s9
	v_cndmask_b32_e32 v28, v28, v12, vcc_lo
	v_cmp_eq_u32_e64 s9, 0, v75
	v_dual_cndmask_b32 v27, v27, v13, s2 :: v_dual_cndmask_b32 v25, v25, v13, s3
	v_dual_cndmask_b32 v24, v24, v12, s3 :: v_dual_cndmask_b32 v23, v74, v13, s4
	;; [unrolled: 1-line block ×6, first 2 shown]
	s_delay_alu instid0(VALU_DEP_2) | instskip(NEXT) | instid1(VALU_DEP_3)
	v_dual_cndmask_b32 v26, v26, v12, s2 :: v_dual_cndmask_b32 v3, v3, v49, s12
	v_cndmask_b32_e64 v2, v2, v56, s11
	s_delay_alu instid0(VALU_DEP_3) | instskip(NEXT) | instid1(VALU_DEP_2)
	v_dual_cndmask_b32 v14, v14, v48, s12 :: v_dual_cndmask_b32 v15, v15, v47, s12
	v_dual_cndmask_b32 v3, v3, v59, s13 :: v_dual_cndmask_b32 v2, v2, v54, s12
	s_delay_alu instid0(VALU_DEP_2) | instskip(NEXT) | instid1(VALU_DEP_2)
	v_dual_cndmask_b32 v14, v14, v46, s13 :: v_dual_cndmask_b32 v15, v15, v63, s13
	v_dual_cndmask_b32 v3, v3, v57, s14 :: v_dual_cndmask_b32 v16, v2, v52, s13
	s_delay_alu instid0(VALU_DEP_2) | instskip(SKIP_1) | instid1(VALU_DEP_3)
	v_dual_cndmask_b32 v2, v14, v44, s14 :: v_dual_cndmask_b32 v15, v15, v61, s14
	v_dual_cndmask_b32 v31, v31, v77, vcc_lo :: v_dual_cndmask_b32 v53, v53, v77, s3
	v_cndmask_b32_e64 v14, v16, v50, s14
	s_delay_alu instid0(VALU_DEP_3)
	v_fmac_f64_e32 v[78:79], v[2:3], v[20:21]
	v_lshl_add_u32 v2, v75, 2, v133
	v_cndmask_b32_e64 v51, v51, v77, s2
	v_cndmask_b32_e64 v55, v55, v77, s4
	v_fmac_f64_e32 v[80:81], v[14:15], v[20:21]
	v_cndmask_b32_e64 v127, v112, v77, s5
	ds_load_b32 v2, v2 offset:40
	v_dual_cndmask_b32 v21, v73, v13, s5 :: v_dual_cndmask_b32 v20, v68, v12, s5
	v_dual_cndmask_b32 v125, v115, v77, s6 :: v_dual_cndmask_b32 v111, v124, v77, s7
	v_cndmask_b32_e64 v16, v65, v12, s7
	v_dual_cndmask_b32 v113, v113, v77, s8 :: v_dual_cndmask_b32 v14, v64, v12, s8
	v_cndmask_b32_e64 v15, v69, v13, s8
	v_dual_cndmask_b32 v115, v114, v77, s9 :: v_dual_cndmask_b32 v126, v41, v76, s5
	v_dual_cndmask_b32 v13, v67, v13, s9 :: v_dual_cndmask_b32 v12, v62, v12, s9
	;; [unrolled: 1-line block ×4, first 2 shown]
	v_dual_cndmask_b32 v30, v30, v76, vcc_lo :: v_dual_cndmask_b32 v60, v36, v76, s3
	v_dual_cndmask_b32 v62, v34, v76, s2 :: v_dual_cndmask_b32 v58, v37, v76, s4
	s_wait_dscnt 0x0
	scratch_store_b32 off, v2, off offset:4
	v_dual_cndmask_b32 v123, v123, v79, s5 :: v_dual_cndmask_b32 v122, v122, v78, s5
	v_dual_cndmask_b32 v121, v121, v79, s6 :: v_dual_cndmask_b32 v120, v120, v78, s6
	;; [unrolled: 1-line block ×5, first 2 shown]
	v_dual_cndmask_b32 v57, v57, v79 :: v_dual_cndmask_b32 v44, v44, v78
	v_dual_cndmask_b32 v59, v59, v79, s2 :: v_dual_cndmask_b32 v46, v46, v78, s2
	v_dual_cndmask_b32 v49, v49, v79, s3 :: v_dual_cndmask_b32 v48, v48, v78, s3
	;; [unrolled: 1-line block ×5, first 2 shown]
	s_wait_xcnt 0x0
	v_dual_cndmask_b32 v3, v135, v81, s7 :: v_dual_cndmask_b32 v2, v134, v80, s7
	v_dual_cndmask_b32 v117, v117, v81, s8 :: v_dual_cndmask_b32 v116, v116, v80, s8
	;; [unrolled: 1-line block ×3, first 2 shown]
	v_dual_cndmask_b32 v61, v61, v81 :: v_dual_cndmask_b32 v50, v50, v80
	v_dual_cndmask_b32 v63, v63, v81, s2 :: v_dual_cndmask_b32 v52, v52, v80, s2
	v_dual_cndmask_b32 v47, v47, v81, s3 :: v_dual_cndmask_b32 v54, v54, v80, s3
	;; [unrolled: 1-line block ×3, first 2 shown]
.LBB0_21:
	s_or_b32 exec_lo, exec_lo, s33
	scratch_store_b32 off, v35, off
	s_wait_xcnt 0x0
	s_and_saveexec_b32 s3, s0
	s_cbranch_execz .LBB0_30
; %bb.22:
	s_mov_b32 s4, 0
	s_branch .LBB0_24
.LBB0_23:                               ;   in Loop: Header=BB0_24 Depth=1
	s_wait_xcnt 0x0
	s_or_b32 exec_lo, exec_lo, s5
	s_wait_dscnt 0x0
	v_cmp_gt_i32_e32 vcc_lo, 0, v32
	v_mov_b32_e32 v38, v32
	s_or_b32 s4, vcc_lo, s4
	s_delay_alu instid0(SALU_CYCLE_1)
	s_and_not1_b32 exec_lo, exec_lo, s4
	s_cbranch_execz .LBB0_30
.LBB0_24:                               ; =>This Inner Loop Header: Depth=1
	s_delay_alu instid0(VALU_DEP_1) | instskip(SKIP_3) | instid1(VALU_DEP_2)
	v_cmp_eq_u32_e32 vcc_lo, 1, v38
	v_cmp_eq_u32_e64 s2, 2, v38
	v_dual_cndmask_b32 v32, v115, v113, vcc_lo :: v_dual_cndmask_b32 v34, v114, v112, vcc_lo
	v_cmp_eq_u32_e32 vcc_lo, 3, v38
	v_dual_cndmask_b32 v32, v32, v111, s2 :: v_dual_cndmask_b32 v34, v34, v110, s2
	s_mov_b32 s2, 0
	s_delay_alu instid0(VALU_DEP_1) | instskip(SKIP_1) | instid1(VALU_DEP_2)
	v_dual_cndmask_b32 v32, v32, v125, vcc_lo :: v_dual_cndmask_b32 v34, v34, v124, vcc_lo
	v_cmp_eq_u32_e32 vcc_lo, 4, v38
	v_dual_cndmask_b32 v32, v32, v127, vcc_lo :: v_dual_cndmask_b32 v34, v34, v126, vcc_lo
	v_cmp_eq_u32_e32 vcc_lo, 5, v38
	s_delay_alu instid0(VALU_DEP_2) | instskip(SKIP_1) | instid1(VALU_DEP_2)
	v_dual_cndmask_b32 v32, v32, v55, vcc_lo :: v_dual_cndmask_b32 v34, v34, v58, vcc_lo
	v_cmp_eq_u32_e32 vcc_lo, 6, v38
	v_dual_cndmask_b32 v32, v32, v53, vcc_lo :: v_dual_cndmask_b32 v34, v34, v60, vcc_lo
	v_cmp_eq_u32_e32 vcc_lo, 7, v38
	s_delay_alu instid0(VALU_DEP_2) | instskip(SKIP_1) | instid1(VALU_DEP_2)
	v_dual_cndmask_b32 v32, v32, v51, vcc_lo :: v_dual_cndmask_b32 v34, v34, v62, vcc_lo
	v_cmp_eq_u32_e32 vcc_lo, 8, v38
	v_dual_cndmask_b32 v35, v32, v31 :: v_dual_cndmask_b32 v34, v34, v30
	s_delay_alu instid0(VALU_DEP_1) | instskip(SKIP_3) | instid1(SALU_CYCLE_1)
	v_cmp_ngt_f64_e32 vcc_lo, 0, v[34:35]
	v_lshl_add_u32 v34, v38, 2, v133
	ds_load_b32 v32, v34 offset:40
	s_and_saveexec_b32 s5, vcc_lo
	s_xor_b32 s5, exec_lo, s5
	s_cbranch_execnz .LBB0_27
; %bb.25:                               ;   in Loop: Header=BB0_24 Depth=1
	s_or_saveexec_b32 s5, s5
	v_mov_b32_e32 v35, 0
	s_xor_b32 exec_lo, exec_lo, s5
	s_cbranch_execnz .LBB0_28
.LBB0_26:                               ;   in Loop: Header=BB0_24 Depth=1
	s_or_b32 exec_lo, exec_lo, s5
	s_and_saveexec_b32 s5, s2
	s_cbranch_execz .LBB0_23
	s_branch .LBB0_29
.LBB0_27:                               ;   in Loop: Header=BB0_24 Depth=1
	scratch_load_b32 v34, off, off
	s_wait_loadcnt 0x0
	v_cmp_eq_u32_e32 vcc_lo, -1, v34
                                        ; implicit-def: $vgpr34
	s_and_b32 s2, vcc_lo, exec_lo
	s_wait_xcnt 0x0
	s_or_saveexec_b32 s5, s5
	v_mov_b32_e32 v35, 0
	s_xor_b32 exec_lo, exec_lo, s5
	s_cbranch_execz .LBB0_26
.LBB0_28:                               ;   in Loop: Header=BB0_24 Depth=1
	scratch_load_b32 v36, off, off offset:4
	v_mov_b32_e32 v35, 4
	s_or_b32 s2, s2, exec_lo
	s_wait_loadcnt 0x0
	ds_store_b32 v34, v36 offset:40
	s_wait_xcnt 0x0
	s_or_b32 exec_lo, exec_lo, s5
	s_and_saveexec_b32 s5, s2
	s_cbranch_execz .LBB0_23
.LBB0_29:                               ;   in Loop: Header=BB0_24 Depth=1
	scratch_store_b32 v35, v38, off
	s_branch .LBB0_23
.LBB0_30:
	s_or_b32 exec_lo, exec_lo, s3
	s_and_saveexec_b32 s2, s1
	s_cbranch_execz .LBB0_32
; %bb.31:
	v_cmp_gt_f64_e32 vcc_lo, 0, v[0:1]
	v_lshl_add_u32 v0, v39, 2, v133
	v_lshl_add_u32 v1, v33, 2, v133
	;; [unrolled: 1-line block ×3, first 2 shown]
	s_and_b32 s0, s0, vcc_lo
	s_delay_alu instid0(SALU_CYCLE_1) | instskip(NEXT) | instid1(SALU_CYCLE_1)
	s_or_b32 s0, s31, s0
	v_cndmask_b32_e64 v32, v40, -1, s0
	ds_store_b32 v0, v33 offset:40
	ds_store_b32 v1, v75 offset:40
	;; [unrolled: 1-line block ×3, first 2 shown]
.LBB0_32:
	s_or_b32 exec_lo, exec_lo, s2
	scratch_load_b32 v38, off, off
	v_mov_b64_e32 v[34:35], -1
	v_mov_b64_e32 v[32:33], -1
	s_mov_b32 s31, 0
	v_mov_b32_e32 v35, -1
	s_wait_loadcnt 0x0
	v_cmp_eq_u32_e32 vcc_lo, 1, v38
	v_cmp_eq_u32_e64 s0, 7, v38
	v_dual_cndmask_b32 v0, v13, v15 :: v_dual_cndmask_b32 v1, v12, v14
	v_cmp_eq_u32_e32 vcc_lo, 2, v38
	s_delay_alu instid0(VALU_DEP_2) | instskip(SKIP_1) | instid1(VALU_DEP_2)
	v_dual_cndmask_b32 v0, v0, v17 :: v_dual_cndmask_b32 v1, v1, v16
	v_cmp_eq_u32_e32 vcc_lo, 3, v38
	v_dual_cndmask_b32 v0, v0, v19 :: v_dual_cndmask_b32 v1, v1, v18
	v_cmp_eq_u32_e32 vcc_lo, 4, v38
	s_delay_alu instid0(VALU_DEP_2) | instskip(SKIP_1) | instid1(VALU_DEP_2)
	v_dual_cndmask_b32 v0, v0, v21 :: v_dual_cndmask_b32 v1, v1, v20
	v_cmp_eq_u32_e32 vcc_lo, 5, v38
	v_dual_cndmask_b32 v0, v0, v23 :: v_dual_cndmask_b32 v1, v1, v22
	v_cmp_eq_u32_e32 vcc_lo, 6, v38
	s_delay_alu instid0(VALU_DEP_2) | instskip(SKIP_2) | instid1(VALU_DEP_3)
	v_dual_cndmask_b32 v0, v0, v25 :: v_dual_cndmask_b32 v1, v1, v24
	v_mov_b32_e32 v39, -1
	v_cmp_eq_u32_e32 vcc_lo, 8, v38
	v_dual_cndmask_b32 v0, v0, v27, s0 :: v_dual_cndmask_b32 v36, v1, v26, s0
	v_cmp_lt_i32_e64 s0, -1, v38
	s_delay_alu instid0(VALU_DEP_2) | instskip(NEXT) | instid1(VALU_DEP_3)
	v_cndmask_b32_e32 v1, v0, v29, vcc_lo
	v_cndmask_b32_e32 v0, v36, v28, vcc_lo
	s_wait_xcnt 0x0
	s_and_saveexec_b32 s5, s0
	s_cbranch_execz .LBB0_36
; %bb.33:
	s_delay_alu instid0(VALU_DEP_1)
	v_mov_b64_e32 v[36:37], v[0:1]
	v_dual_mov_b32 v39, -1 :: v_dual_mov_b32 v33, v38
	v_dual_mov_b32 v34, -1 :: v_dual_mov_b32 v32, -1
	v_mov_b32_e32 v35, -1
	s_mov_b32 s6, 0
                                        ; implicit-def: $sgpr7
.LBB0_34:                               ; =>This Inner Loop Header: Depth=1
	s_delay_alu instid0(VALU_DEP_3)
	v_lshl_add_u32 v40, v33, 2, v133
	v_cmp_gt_f64_e64 s3, 0, v[36:37]
	ds_load_b32 v42, v40 offset:40
	s_wait_dscnt 0x0
	v_cmp_gt_i32_e32 vcc_lo, 0, v42
	v_cndmask_b32_e32 v43, v42, v38, vcc_lo
	s_delay_alu instid0(VALU_DEP_1) | instskip(NEXT) | instid1(VALU_DEP_1)
	v_cmp_eq_u32_e64 s1, 1, v43
	v_dual_cndmask_b32 v40, v13, v15, s1 :: v_dual_cndmask_b32 v41, v12, v14, s1
	v_cmp_eq_u32_e64 s1, 2, v43
	s_delay_alu instid0(VALU_DEP_1) | instskip(SKIP_1) | instid1(VALU_DEP_1)
	v_dual_cndmask_b32 v40, v40, v17, s1 :: v_dual_cndmask_b32 v41, v41, v16, s1
	v_cmp_eq_u32_e64 s1, 3, v43
	v_dual_cndmask_b32 v40, v40, v19, s1 :: v_dual_cndmask_b32 v41, v41, v18, s1
	v_cmp_eq_u32_e64 s1, 4, v43
	s_delay_alu instid0(VALU_DEP_1) | instskip(SKIP_1) | instid1(VALU_DEP_1)
	v_dual_cndmask_b32 v40, v40, v21, s1 :: v_dual_cndmask_b32 v41, v41, v20, s1
	;; [unrolled: 5-line block ×3, first 2 shown]
	v_cmp_eq_u32_e64 s1, 7, v43
	v_dual_cndmask_b32 v40, v40, v27, s1 :: v_dual_cndmask_b32 v64, v41, v26, s1
	v_cmp_eq_u32_e64 s1, 8, v43
	s_delay_alu instid0(VALU_DEP_1) | instskip(NEXT) | instid1(VALU_DEP_3)
	v_cndmask_b32_e64 v41, v40, v29, s1
	v_cndmask_b32_e64 v40, v64, v28, s1
	v_cmp_le_f64_e64 s1, 0, v[36:37]
	s_delay_alu instid0(VALU_DEP_2) | instskip(SKIP_1) | instid1(SALU_CYCLE_1)
	v_cmp_gt_f64_e64 s2, 0, v[40:41]
	s_and_b32 s1, s1, s2
	v_cndmask_b32_e64 v39, v39, v33, s1
	v_cmp_le_f64_e64 s4, 0, v[40:41]
	s_and_b32 s2, s3, s4
	s_delay_alu instid0(SALU_CYCLE_1)
	v_dual_cndmask_b32 v32, v32, v43, s1 :: v_dual_cndmask_b32 v34, v34, v33, s2
	v_mov_b32_e32 v33, v42
	v_mov_b64_e32 v[36:37], v[40:41]
	v_cndmask_b32_e64 v35, v35, v43, s2
	s_or_b32 s6, vcc_lo, s6
	s_and_not1_b32 s1, s7, exec_lo
	s_and_b32 s2, s3, exec_lo
	s_delay_alu instid0(SALU_CYCLE_1)
	s_or_b32 s7, s1, s2
	s_and_not1_b32 exec_lo, exec_lo, s6
	s_cbranch_execnz .LBB0_34
; %bb.35:
	s_or_b32 exec_lo, exec_lo, s6
	s_delay_alu instid0(SALU_CYCLE_1)
	s_and_b32 s31, s7, exec_lo
.LBB0_36:
	s_or_b32 exec_lo, exec_lo, s5
	v_dual_mov_b32 v36, -1 :: v_dual_mov_b32 v37, -1
	v_cmp_lt_i32_e64 s1, -1, v39
	v_mov_b32_e32 v33, -1
	s_and_saveexec_b32 s33, s1
	s_cbranch_execz .LBB0_38
; %bb.37:
	v_cmp_eq_u32_e64 s8, 1, v32
	v_cmp_eq_u32_e64 s9, 2, v32
	;; [unrolled: 1-line block ×5, first 2 shown]
	v_cndmask_b32_e64 v33, v13, v15, s8
	v_cmp_eq_u32_e64 s13, 6, v32
	v_cmp_eq_u32_e64 s14, 7, v32
	;; [unrolled: 1-line block ×3, first 2 shown]
	s_delay_alu instid0(VALU_DEP_4) | instskip(SKIP_3) | instid1(VALU_DEP_4)
	v_dual_cndmask_b32 v32, v12, v14, s8 :: v_dual_cndmask_b32 v33, v33, v17, s9
	v_cmp_eq_u32_e64 s16, 1, v39
	v_cmp_eq_u32_e64 s17, 2, v39
	;; [unrolled: 1-line block ×3, first 2 shown]
	v_dual_cndmask_b32 v32, v32, v16, s9 :: v_dual_cndmask_b32 v33, v33, v19, s10
	v_cmp_eq_u32_e64 s19, 4, v39
	v_cmp_eq_u32_e64 s20, 5, v39
	;; [unrolled: 1-line block ×3, first 2 shown]
	s_delay_alu instid0(VALU_DEP_4) | instskip(SKIP_2) | instid1(VALU_DEP_3)
	v_dual_cndmask_b32 v32, v32, v18, s10 :: v_dual_cndmask_b32 v33, v33, v21, s11
	v_cmp_eq_u32_e64 s22, 7, v39
	v_cmp_eq_u32_e64 s23, 8, v39
	v_dual_cndmask_b32 v32, v32, v20, s11 :: v_dual_cndmask_b32 v33, v33, v23, s12
	s_delay_alu instid0(VALU_DEP_1) | instskip(NEXT) | instid1(VALU_DEP_1)
	v_dual_cndmask_b32 v32, v32, v22, s12 :: v_dual_cndmask_b32 v33, v33, v25, s13
	v_dual_cndmask_b32 v32, v32, v24, s13 :: v_dual_cndmask_b32 v33, v33, v27, s14
	s_delay_alu instid0(VALU_DEP_1) | instskip(SKIP_1) | instid1(VALU_DEP_2)
	v_dual_cndmask_b32 v32, v32, v26, s14 :: v_dual_cndmask_b32 v65, v33, v29, s15
	v_cndmask_b32_e64 v33, v12, v14, s16
	v_dual_cndmask_b32 v64, v32, v28, s15 :: v_dual_cndmask_b32 v32, v13, v15, s16
	s_delay_alu instid0(VALU_DEP_1) | instskip(NEXT) | instid1(VALU_DEP_1)
	v_dual_cndmask_b32 v33, v33, v16, s17 :: v_dual_cndmask_b32 v32, v32, v17, s17
	v_dual_cndmask_b32 v33, v33, v18, s18 :: v_dual_cndmask_b32 v32, v32, v19, s18
	s_delay_alu instid0(VALU_DEP_1) | instskip(NEXT) | instid1(VALU_DEP_1)
	v_dual_cndmask_b32 v33, v33, v20, s19 :: v_dual_cndmask_b32 v32, v32, v21, s19
	;; [unrolled: 3-line block ×3, first 2 shown]
	v_dual_cndmask_b32 v33, v33, v26, s22 :: v_dual_cndmask_b32 v32, v32, v27, s22
	s_delay_alu instid0(VALU_DEP_1) | instskip(SKIP_1) | instid1(VALU_DEP_2)
	v_dual_cndmask_b32 v66, v33, v28, s23 :: v_dual_cndmask_b32 v67, v32, v29, s23
	v_add_f64_e64 v[32:33], -v[64:65], 0
	v_add_f64_e64 v[40:41], v[66:67], -v[64:65]
	s_delay_alu instid0(VALU_DEP_1) | instskip(NEXT) | instid1(VALU_DEP_1)
	v_div_scale_f64 v[42:43], null, v[40:41], v[40:41], v[32:33]
	v_rcp_f64_e32 v[68:69], v[42:43]
	v_nop
	s_delay_alu instid0(TRANS32_DEP_1) | instskip(NEXT) | instid1(VALU_DEP_1)
	v_fma_f64 v[70:71], -v[42:43], v[68:69], 1.0
	v_fmac_f64_e32 v[68:69], v[68:69], v[70:71]
	s_delay_alu instid0(VALU_DEP_1) | instskip(NEXT) | instid1(VALU_DEP_1)
	v_fma_f64 v[70:71], -v[42:43], v[68:69], 1.0
	v_fmac_f64_e32 v[68:69], v[68:69], v[70:71]
	v_div_scale_f64 v[70:71], vcc_lo, v[32:33], v[40:41], v[32:33]
	s_delay_alu instid0(VALU_DEP_1) | instskip(NEXT) | instid1(VALU_DEP_1)
	v_mul_f64_e32 v[72:73], v[70:71], v[68:69]
	v_fma_f64 v[42:43], -v[42:43], v[72:73], v[70:71]
	s_delay_alu instid0(VALU_DEP_1) | instskip(NEXT) | instid1(VALU_DEP_1)
	v_div_fmas_f64 v[42:43], v[42:43], v[68:69], v[72:73]
	v_div_fixup_f64 v[78:79], v[42:43], v[40:41], v[32:33]
	v_dual_cndmask_b32 v32, v115, v113, s16 :: v_dual_cndmask_b32 v33, v114, v112, s16
	s_delay_alu instid0(VALU_DEP_1) | instskip(NEXT) | instid1(VALU_DEP_1)
	v_dual_cndmask_b32 v32, v32, v111, s17 :: v_dual_cndmask_b32 v33, v33, v110, s17
	v_dual_cndmask_b32 v32, v32, v125, s18 :: v_dual_cndmask_b32 v33, v33, v124, s18
	s_delay_alu instid0(VALU_DEP_1) | instskip(NEXT) | instid1(VALU_DEP_1)
	v_dual_cndmask_b32 v32, v32, v127, s19 :: v_dual_cndmask_b32 v33, v33, v126, s19
	;; [unrolled: 3-line block ×3, first 2 shown]
	v_cndmask_b32_e64 v32, v32, v51, s22
	v_add_f64_e64 v[80:81], -v[78:79], 1.0
	s_delay_alu instid0(VALU_DEP_2) | instskip(NEXT) | instid1(VALU_DEP_1)
	v_dual_cndmask_b32 v33, v33, v62, s22 :: v_dual_cndmask_b32 v41, v32, v31, s23
	v_dual_cndmask_b32 v32, v115, v113, s8 :: v_dual_cndmask_b32 v40, v33, v30, s23
	s_delay_alu instid0(VALU_DEP_1) | instskip(NEXT) | instid1(VALU_DEP_1)
	v_dual_cndmask_b32 v33, v114, v112, s8 :: v_dual_cndmask_b32 v32, v32, v111, s9
	v_dual_cndmask_b32 v33, v33, v110, s9 :: v_dual_cndmask_b32 v32, v32, v125, s10
	s_delay_alu instid0(VALU_DEP_1) | instskip(NEXT) | instid1(VALU_DEP_1)
	v_dual_cndmask_b32 v33, v33, v124, s10 :: v_dual_cndmask_b32 v32, v32, v127, s11
	v_dual_cndmask_b32 v33, v33, v126, s11 :: v_dual_cndmask_b32 v32, v32, v55, s12
	s_delay_alu instid0(VALU_DEP_1) | instskip(SKIP_1) | instid1(VALU_DEP_2)
	v_dual_cndmask_b32 v33, v33, v58, s12 :: v_dual_cndmask_b32 v32, v32, v53, s13
	v_mul_f64_e32 v[134:135], v[64:65], v[80:81]
	v_dual_cndmask_b32 v33, v33, v60, s13 :: v_dual_cndmask_b32 v32, v32, v51, s14
	s_delay_alu instid0(VALU_DEP_1) | instskip(NEXT) | instid1(VALU_DEP_3)
	v_dual_cndmask_b32 v37, v33, v62, s14 :: v_dual_cndmask_b32 v33, v32, v31, s15
	v_fmac_f64_e32 v[134:135], v[66:67], v[78:79]
	s_delay_alu instid0(VALU_DEP_2)
	v_cndmask_b32_e64 v32, v37, v30, s15
	scratch_load_b32 v37, off, off offset:4
	s_wait_loadcnt 0x0
	v_cmp_eq_u32_e64 s25, 7, v37
	v_cmp_eq_u32_e64 s2, 5, v37
	;; [unrolled: 1-line block ×5, first 2 shown]
	v_dual_mul_f64 v[32:33], v[32:33], v[80:81] :: v_dual_cndmask_b32 v27, v27, v135, s25
	v_cndmask_b32_e64 v26, v26, v134, s25
	s_delay_alu instid0(VALU_DEP_4)
	v_dual_cndmask_b32 v67, v18, v134, s3 :: v_dual_cndmask_b32 v64, v12, v134, s6
	v_cmp_eq_u32_e64 s5, 1, v37
	v_cmp_eq_u32_e64 s4, 2, v37
	v_cndmask_b32_e64 v71, v22, v134, s2
	v_cmp_eq_u32_e32 vcc_lo, 6, v37
	v_cmp_eq_u32_e64 s7, 4, v37
	v_dual_cndmask_b32 v65, v14, v134, s5 :: v_dual_cndmask_b32 v29, v29, v135, s24
	v_dual_cndmask_b32 v72, v17, v135, s4 :: v_dual_cndmask_b32 v70, v15, v135, s5
	s_delay_alu instid0(VALU_DEP_3)
	v_dual_cndmask_b32 v66, v16, v134, s4 :: v_dual_cndmask_b32 v75, v21, v135, s7
	v_dual_cndmask_b32 v74, v19, v135, s3 :: v_dual_cndmask_b32 v77, v25, v135, vcc_lo
	v_cndmask_b32_e64 v76, v23, v135, s2
	v_dual_cndmask_b32 v12, v109, v107, s8 :: v_dual_cndmask_b32 v69, v20, v134, s7
	v_cndmask_b32_e32 v73, v24, v134, vcc_lo
	v_cndmask_b32_e64 v28, v28, v134, s24
	v_cndmask_b32_e64 v15, v108, v106, s16
	v_fmac_f64_e32 v[32:33], v[40:41], v[78:79]
	v_dual_cndmask_b32 v68, v13, v135, s6 :: v_dual_cndmask_b32 v13, v108, v106, s8
	s_delay_alu instid0(VALU_DEP_1) | instskip(NEXT) | instid1(VALU_DEP_1)
	v_dual_cndmask_b32 v12, v12, v105, s9 :: v_dual_cndmask_b32 v13, v13, v104, s9
	v_dual_cndmask_b32 v12, v12, v121, s10 :: v_dual_cndmask_b32 v13, v13, v120, s10
	s_delay_alu instid0(VALU_DEP_1) | instskip(NEXT) | instid1(VALU_DEP_1)
	v_dual_cndmask_b32 v12, v12, v123, s11 :: v_dual_cndmask_b32 v13, v13, v122, s11
	;; [unrolled: 3-line block ×3, first 2 shown]
	v_dual_cndmask_b32 v12, v12, v59, s14 :: v_dual_cndmask_b32 v14, v13, v46, s14
	v_cndmask_b32_e64 v55, v55, v33, s2
	s_delay_alu instid0(VALU_DEP_2)
	v_cndmask_b32_e64 v13, v12, v57, s15
	v_dual_cndmask_b32 v31, v31, v33, s24 :: v_dual_cndmask_b32 v30, v30, v32, s24
	v_cndmask_b32_e32 v41, v60, v32, vcc_lo
	v_dual_cndmask_b32 v12, v14, v44, s15 :: v_dual_cndmask_b32 v14, v109, v107, s16
	v_cndmask_b32_e64 v40, v62, v32, s25
	v_dual_cndmask_b32 v42, v58, v32, s2 :: v_dual_cndmask_b32 v62, v112, v32, s5
	s_delay_alu instid0(VALU_DEP_3) | instskip(NEXT) | instid1(VALU_DEP_4)
	v_mul_f64_e32 v[12:13], v[12:13], v[80:81]
	v_cndmask_b32_e64 v14, v14, v105, s17
	v_dual_cndmask_b32 v43, v126, v32, s7 :: v_dual_cndmask_b32 v58, v124, v32, s3
	v_cndmask_b32_e64 v60, v110, v32, s4
	v_dual_cndmask_b32 v32, v114, v32, s6 :: v_dual_cndmask_b32 v51, v51, v33, s25
	v_dual_cndmask_b32 v53, v53, v33, vcc_lo :: v_dual_cndmask_b32 v111, v111, v33, s4
	v_dual_cndmask_b32 v113, v113, v33, s5 :: v_dual_cndmask_b32 v15, v15, v104, s17
	v_cndmask_b32_e64 v14, v14, v121, s18
	v_dual_cndmask_b32 v110, v127, v33, s7 :: v_dual_cndmask_b32 v112, v125, v33, s3
	s_delay_alu instid0(VALU_DEP_2) | instskip(NEXT) | instid1(VALU_DEP_1)
	v_dual_cndmask_b32 v14, v14, v123, s19 :: v_dual_cndmask_b32 v15, v15, v120, s18
	v_dual_cndmask_b32 v14, v14, v45, s20 :: v_dual_cndmask_b32 v15, v15, v122, s19
	s_delay_alu instid0(VALU_DEP_1) | instskip(NEXT) | instid1(VALU_DEP_1)
	v_dual_cndmask_b32 v14, v14, v49, s21 :: v_dual_cndmask_b32 v15, v15, v10, s20
	v_dual_cndmask_b32 v14, v14, v59, s22 :: v_dual_cndmask_b32 v15, v15, v48, s21
	s_delay_alu instid0(VALU_DEP_1) | instskip(NEXT) | instid1(VALU_DEP_1)
	v_dual_cndmask_b32 v16, v15, v46, s22 :: v_dual_cndmask_b32 v15, v14, v57, s23
	v_cndmask_b32_e64 v14, v16, v44, s23
	s_delay_alu instid0(VALU_DEP_1) | instskip(SKIP_2) | instid1(VALU_DEP_2)
	v_fmac_f64_e32 v[12:13], v[14:15], v[78:79]
	v_dual_cndmask_b32 v14, v119, v117, s8 :: v_dual_cndmask_b32 v15, v118, v116, s8
	v_cmp_eq_u32_e64 s8, 3, v35
	v_dual_cndmask_b32 v114, v115, v33, s6 :: v_dual_cndmask_b32 v14, v14, v3, s9
	s_delay_alu instid0(VALU_DEP_3) | instskip(SKIP_1) | instid1(VALU_DEP_2)
	v_cndmask_b32_e64 v15, v15, v2, s9
	v_cmp_eq_u32_e64 s9, 4, v35
	v_dual_cndmask_b32 v14, v14, v129, s10 :: v_dual_cndmask_b32 v15, v15, v128, s10
	v_cmp_eq_u32_e64 s10, 5, v35
	s_delay_alu instid0(VALU_DEP_2) | instskip(SKIP_1) | instid1(VALU_DEP_2)
	v_dual_cndmask_b32 v14, v14, v131, s11 :: v_dual_cndmask_b32 v15, v15, v130, s11
	v_cmp_eq_u32_e64 s11, 6, v35
	v_dual_cndmask_b32 v14, v14, v11, s12 :: v_dual_cndmask_b32 v15, v15, v56, s12
	v_cmp_eq_u32_e64 s12, 7, v35
	s_delay_alu instid0(VALU_DEP_2) | instskip(SKIP_1) | instid1(VALU_DEP_2)
	v_dual_cndmask_b32 v14, v14, v47, s13 :: v_dual_cndmask_b32 v15, v15, v54, s13
	v_cmp_eq_u32_e64 s13, 8, v35
	v_dual_cndmask_b32 v14, v14, v63, s14 :: v_dual_cndmask_b32 v16, v15, v52, s14
	v_cndmask_b32_e32 v49, v49, v13, vcc_lo
	v_cndmask_b32_e64 v45, v45, v13, s2
	v_cmp_eq_u32_e64 s14, 1, v34
	s_delay_alu instid0(VALU_DEP_4) | instskip(SKIP_3) | instid1(VALU_DEP_3)
	v_dual_cndmask_b32 v15, v14, v61, s15 :: v_dual_cndmask_b32 v14, v16, v50, s15
	v_cndmask_b32_e64 v16, v119, v117, s16
	v_cmp_eq_u32_e64 s15, 2, v34
	v_dual_cndmask_b32 v48, v48, v12, vcc_lo :: v_dual_cndmask_b32 v10, v10, v12, s2
	v_dual_mul_f64 v[14:15], v[14:15], v[80:81] :: v_dual_cndmask_b32 v16, v16, v3, s17
	v_cndmask_b32_e64 v17, v118, v116, s16
	v_cmp_eq_u32_e64 s16, 4, v34
	v_dual_cndmask_b32 v44, v44, v12, s24 :: v_dual_cndmask_b32 v46, v46, v12, s25
	s_delay_alu instid0(VALU_DEP_3) | instskip(SKIP_2) | instid1(VALU_DEP_3)
	v_dual_cndmask_b32 v16, v16, v129, s18 :: v_dual_cndmask_b32 v17, v17, v2, s17
	v_cmp_eq_u32_e64 s17, 5, v34
	v_dual_cndmask_b32 v57, v57, v13, s24 :: v_dual_cndmask_b32 v59, v59, v13, s25
	v_dual_cndmask_b32 v16, v16, v131, s19 :: v_dual_cndmask_b32 v17, v17, v128, s18
	v_cmp_eq_u32_e64 s18, 6, v34
	v_dual_cndmask_b32 v122, v122, v12, s7 :: v_dual_cndmask_b32 v120, v120, v12, s3
	s_delay_alu instid0(VALU_DEP_3) | instskip(NEXT) | instid1(VALU_DEP_4)
	v_dual_cndmask_b32 v106, v106, v12, s5 :: v_dual_cndmask_b32 v16, v16, v11, s20
	v_cndmask_b32_e64 v17, v17, v130, s19
	v_cmp_eq_u32_e64 s19, 7, v34
	v_dual_cndmask_b32 v104, v104, v12, s4 :: v_dual_cndmask_b32 v123, v123, v13, s7
	s_delay_alu instid0(VALU_DEP_3) | instskip(SKIP_2) | instid1(VALU_DEP_3)
	v_dual_cndmask_b32 v16, v16, v47, s21 :: v_dual_cndmask_b32 v17, v17, v56, s20
	v_cmp_eq_u32_e64 s20, 8, v34
	v_dual_cndmask_b32 v108, v108, v12, s6 :: v_dual_cndmask_b32 v121, v121, v13, s3
	v_dual_cndmask_b32 v16, v16, v63, s22 :: v_dual_cndmask_b32 v17, v17, v54, s21
	v_cmp_eq_u32_e64 s21, 3, v34
	v_dual_cndmask_b32 v105, v105, v13, s4 :: v_dual_cndmask_b32 v107, v107, v13, s5
	s_delay_alu instid0(VALU_DEP_3) | instskip(NEXT) | instid1(VALU_DEP_4)
	v_dual_cndmask_b32 v12, v114, v113, s14 :: v_dual_cndmask_b32 v18, v17, v52, s22
	v_cndmask_b32_e64 v17, v16, v61, s23
	v_cmp_eq_u32_e64 s22, 2, v35
	s_delay_alu instid0(VALU_DEP_3) | instskip(SKIP_1) | instid1(VALU_DEP_2)
	v_cndmask_b32_e64 v16, v18, v50, s23
	v_cmp_eq_u32_e64 s23, 1, v35
	v_fmac_f64_e32 v[14:15], v[16:17], v[78:79]
	s_delay_alu instid0(VALU_DEP_2) | instskip(SKIP_1) | instid1(VALU_DEP_2)
	v_dual_cndmask_b32 v16, v68, v70, s14 :: v_dual_cndmask_b32 v18, v68, v70, s23
	v_dual_cndmask_b32 v17, v64, v65, s14 :: v_dual_cndmask_b32 v19, v64, v65, s23
	;; [unrolled: 1-line block ×3, first 2 shown]
	s_delay_alu instid0(VALU_DEP_2) | instskip(NEXT) | instid1(VALU_DEP_3)
	v_dual_cndmask_b32 v18, v18, v72, s22 :: v_dual_cndmask_b32 v17, v17, v66, s15
	v_cndmask_b32_e64 v19, v19, v66, s22
	v_cndmask_b32_e64 v13, v32, v62, s14
	s_delay_alu instid0(VALU_DEP_3) | instskip(NEXT) | instid1(VALU_DEP_3)
	v_dual_cndmask_b32 v16, v16, v74, s21 :: v_dual_cndmask_b32 v18, v18, v74, s8
	v_dual_cndmask_b32 v17, v17, v67, s21 :: v_dual_cndmask_b32 v19, v19, v67, s8
	v_cndmask_b32_e64 v12, v12, v111, s15
	s_delay_alu instid0(VALU_DEP_3) | instskip(NEXT) | instid1(VALU_DEP_3)
	v_dual_cndmask_b32 v16, v16, v75, s16 :: v_dual_cndmask_b32 v18, v18, v75, s9
	v_dual_cndmask_b32 v17, v17, v69, s16 :: v_dual_cndmask_b32 v19, v19, v69, s9
	s_delay_alu instid0(VALU_DEP_3) | instskip(NEXT) | instid1(VALU_DEP_3)
	v_cndmask_b32_e64 v12, v12, v112, s21
	v_dual_cndmask_b32 v16, v16, v76, s17 :: v_dual_cndmask_b32 v18, v18, v76, s10
	s_delay_alu instid0(VALU_DEP_3) | instskip(NEXT) | instid1(VALU_DEP_2)
	v_dual_cndmask_b32 v17, v17, v71, s17 :: v_dual_cndmask_b32 v19, v19, v71, s10
	v_dual_cndmask_b32 v16, v16, v77, s18 :: v_dual_cndmask_b32 v18, v18, v77, s11
	s_delay_alu instid0(VALU_DEP_2) | instskip(NEXT) | instid1(VALU_DEP_2)
	v_dual_cndmask_b32 v17, v17, v73, s18 :: v_dual_cndmask_b32 v19, v19, v73, s11
	v_dual_cndmask_b32 v16, v16, v27, s19 :: v_dual_cndmask_b32 v20, v18, v27, s12
	s_delay_alu instid0(VALU_DEP_2) | instskip(SKIP_1) | instid1(VALU_DEP_2)
	v_dual_cndmask_b32 v17, v17, v26, s19 :: v_dual_cndmask_b32 v21, v19, v26, s12
	v_dual_cndmask_b32 v54, v54, v14, vcc_lo :: v_dual_cndmask_b32 v56, v56, v14, s2
	v_dual_cndmask_b32 v19, v16, v29, s20 :: v_dual_cndmask_b32 v18, v17, v28, s20
	s_delay_alu instid0(VALU_DEP_3) | instskip(SKIP_1) | instid1(VALU_DEP_3)
	v_dual_cndmask_b32 v17, v20, v29, s13 :: v_dual_cndmask_b32 v16, v21, v28, s13
	v_dual_cndmask_b32 v128, v128, v14, s3 :: v_dual_cndmask_b32 v136, v2, v14, s4
	v_add_f64_e64 v[20:21], -v[18:19], 0
	v_dual_cndmask_b32 v137, v3, v15, s4 :: v_dual_cndmask_b32 v2, v114, v113, s23
	s_delay_alu instid0(VALU_DEP_4)
	v_add_f64_e64 v[22:23], v[16:17], -v[18:19]
	v_dual_cndmask_b32 v119, v119, v15, s6 :: v_dual_cndmask_b32 v3, v32, v62, s23
	v_dual_cndmask_b32 v50, v50, v14, s24 :: v_dual_cndmask_b32 v52, v52, v14, s25
	v_dual_cndmask_b32 v130, v130, v14, s7 :: v_dual_cndmask_b32 v116, v116, v14, s5
	v_dual_cndmask_b32 v118, v118, v14, s6 :: v_dual_cndmask_b32 v14, v109, v107, s23
	v_cndmask_b32_e64 v13, v13, v60, s15
	v_dual_cndmask_b32 v61, v61, v15, s24 :: v_dual_cndmask_b32 v63, v63, v15, s25
	v_dual_cndmask_b32 v11, v11, v15, s2 :: v_dual_cndmask_b32 v129, v129, v15, s3
	;; [unrolled: 1-line block ×3, first 2 shown]
	s_delay_alu instid0(VALU_DEP_1)
	v_cndmask_b32_e64 v33, v119, v117, s14
	v_div_scale_f64 v[24:25], null, v[22:23], v[22:23], v[20:21]
	v_cndmask_b32_e32 v34, v47, v15, vcc_lo
	v_div_scale_f64 v[134:135], vcc_lo, v[20:21], v[22:23], v[20:21]
	v_dual_cndmask_b32 v15, v108, v106, s23 :: v_dual_cndmask_b32 v14, v14, v105, s22
	v_lshl_add_u32 v47, v37, 2, v133
	s_delay_alu instid0(VALU_DEP_2) | instskip(NEXT) | instid1(VALU_DEP_1)
	v_cndmask_b32_e64 v15, v15, v104, s22
	v_cndmask_b32_e64 v124, v15, v120, s8
	v_rcp_f64_e32 v[78:79], v[24:25]
	v_nop
	s_delay_alu instid0(TRANS32_DEP_1) | instskip(NEXT) | instid1(VALU_DEP_1)
	v_fma_f64 v[80:81], -v[24:25], v[78:79], 1.0
	v_fmac_f64_e32 v[78:79], v[78:79], v[80:81]
	s_delay_alu instid0(VALU_DEP_1) | instskip(NEXT) | instid1(VALU_DEP_1)
	v_fma_f64 v[80:81], -v[24:25], v[78:79], 1.0
	v_fmac_f64_e32 v[78:79], v[78:79], v[80:81]
	s_delay_alu instid0(VALU_DEP_1) | instskip(NEXT) | instid1(VALU_DEP_1)
	v_mul_f64_e32 v[80:81], v[134:135], v[78:79]
	v_fma_f64 v[24:25], -v[24:25], v[80:81], v[134:135]
	s_delay_alu instid0(VALU_DEP_1) | instskip(SKIP_3) | instid1(VALU_DEP_3)
	v_div_fmas_f64 v[24:25], v[24:25], v[78:79], v[80:81]
	v_dual_cndmask_b32 v79, v2, v111, s22 :: v_dual_cndmask_b32 v80, v3, v60, s22
	v_cndmask_b32_e64 v13, v13, v58, s21
	v_dual_cndmask_b32 v12, v12, v110, s16 :: v_dual_cndmask_b32 v78, v118, v116, s14
	v_dual_cndmask_b32 v79, v79, v112, s8 :: v_dual_cndmask_b32 v80, v80, v58, s8
	s_delay_alu instid0(VALU_DEP_3) | instskip(NEXT) | instid1(VALU_DEP_3)
	v_cndmask_b32_e64 v13, v13, v43, s16
	v_dual_cndmask_b32 v33, v33, v137, s15 :: v_dual_cndmask_b32 v12, v12, v55, s17
	s_delay_alu instid0(VALU_DEP_3) | instskip(NEXT) | instid1(VALU_DEP_2)
	v_dual_cndmask_b32 v78, v78, v136, s15 :: v_dual_cndmask_b32 v80, v80, v43, s9
	v_dual_cndmask_b32 v13, v13, v42, s17 :: v_dual_cndmask_b32 v12, v12, v53, s18
	s_delay_alu instid0(VALU_DEP_1) | instskip(NEXT) | instid1(VALU_DEP_1)
	v_dual_cndmask_b32 v13, v13, v41, s18 :: v_dual_cndmask_b32 v12, v12, v51, s19
	v_dual_cndmask_b32 v115, v14, v121, s8 :: v_dual_cndmask_b32 v15, v13, v40, s19
	s_delay_alu instid0(VALU_DEP_1) | instskip(SKIP_4) | instid1(VALU_DEP_2)
	v_dual_cndmask_b32 v13, v12, v31, s20 :: v_dual_cndmask_b32 v12, v15, v30, s20
	v_cndmask_b32_e64 v15, v79, v110, s9
	v_div_fixup_f64 v[20:21], v[24:25], v[22:23], v[20:21]
	v_dual_cndmask_b32 v22, v109, v107, s14 :: v_dual_cndmask_b32 v23, v108, v106, s14
	v_dual_cndmask_b32 v24, v119, v117, s23 :: v_dual_cndmask_b32 v25, v118, v116, s23
	;; [unrolled: 1-line block ×3, first 2 shown]
	s_delay_alu instid0(VALU_DEP_2) | instskip(NEXT) | instid1(VALU_DEP_2)
	v_dual_cndmask_b32 v23, v23, v104, s15 :: v_dual_cndmask_b32 v24, v24, v137, s22
	v_dual_cndmask_b32 v25, v25, v136, s22 :: v_dual_cndmask_b32 v14, v22, v121, s21
	s_delay_alu instid0(VALU_DEP_2) | instskip(NEXT) | instid1(VALU_DEP_3)
	v_dual_cndmask_b32 v22, v23, v120, s21 :: v_dual_cndmask_b32 v23, v33, v129, s21
	v_dual_cndmask_b32 v33, v78, v128, s21 :: v_dual_cndmask_b32 v24, v24, v129, s8
	s_delay_alu instid0(VALU_DEP_3) | instskip(NEXT) | instid1(VALU_DEP_3)
	v_cndmask_b32_e64 v14, v14, v123, s16
	v_cndmask_b32_e64 v22, v22, v122, s16
	v_add_f64_e64 v[2:3], -v[20:21], 1.0
	s_delay_alu instid0(VALU_DEP_1) | instskip(SKIP_4) | instid1(VALU_DEP_3)
	v_mul_f64_e32 v[78:79], v[12:13], v[2:3]
	v_mul_f64_e32 v[12:13], v[18:19], v[2:3]
	v_dual_cndmask_b32 v18, v23, v131, s16 :: v_dual_cndmask_b32 v19, v33, v130, s16
	v_dual_cndmask_b32 v23, v80, v42, s10 :: v_dual_cndmask_b32 v14, v14, v45, s17
	v_cndmask_b32_e64 v22, v22, v10, s17
	v_dual_cndmask_b32 v18, v18, v11, s17 :: v_dual_cndmask_b32 v15, v15, v53, s11
	s_delay_alu instid0(VALU_DEP_4) | instskip(NEXT) | instid1(VALU_DEP_3)
	v_cndmask_b32_e64 v19, v19, v56, s17
	v_dual_cndmask_b32 v23, v23, v41, s11 :: v_dual_cndmask_b32 v22, v22, v48, s18
	v_cndmask_b32_e64 v14, v14, v49, s18
	s_delay_alu instid0(VALU_DEP_4) | instskip(NEXT) | instid1(VALU_DEP_4)
	v_dual_cndmask_b32 v18, v18, v34, s18 :: v_dual_cndmask_b32 v33, v15, v51, s12
	v_cndmask_b32_e64 v19, v19, v54, s18
	s_delay_alu instid0(VALU_DEP_4) | instskip(NEXT) | instid1(VALU_DEP_4)
	v_dual_cndmask_b32 v22, v22, v46, s19 :: v_dual_cndmask_b32 v81, v23, v40, s12
	v_cndmask_b32_e64 v14, v14, v59, s19
	s_delay_alu instid0(VALU_DEP_3) | instskip(SKIP_4) | instid1(VALU_DEP_3)
	v_dual_cndmask_b32 v23, v33, v31, s13 :: v_dual_cndmask_b32 v80, v19, v52, s19
	ds_load_b32 v33, v47 offset:40
	v_cndmask_b32_e64 v18, v18, v63, s19
	v_cndmask_b32_e64 v15, v14, v57, s20
	v_dual_cndmask_b32 v14, v22, v44, s20 :: v_dual_cndmask_b32 v22, v81, v30, s13
	v_dual_cndmask_b32 v19, v18, v61, s20 :: v_dual_cndmask_b32 v18, v80, v50, s20
	s_delay_alu instid0(VALU_DEP_2)
	v_fmac_f64_e32 v[78:79], v[22:23], v[20:21]
	v_fmac_f64_e32 v[12:13], v[16:17], v[20:21]
	s_wait_dscnt 0x0
	v_cmp_eq_u32_e32 vcc_lo, 8, v33
	v_mul_f64_e32 v[80:81], v[14:15], v[2:3]
	v_dual_mul_f64 v[134:135], v[18:19], v[2:3] :: v_dual_cndmask_b32 v2, v25, v128, s8
	v_dual_cndmask_b32 v3, v115, v123, s9 :: v_dual_cndmask_b32 v14, v124, v122, s9
	v_cndmask_b32_e64 v15, v24, v131, s9
	v_cmp_eq_u32_e64 s2, 7, v33
	v_cmp_eq_u32_e64 s3, 6, v33
	v_cmp_eq_u32_e64 s4, 5, v33
	v_cmp_eq_u32_e64 s5, 4, v33
	v_cmp_eq_u32_e64 s6, 3, v33
	v_cmp_eq_u32_e64 s7, 2, v33
	v_cmp_eq_u32_e64 s8, 1, v33
	v_dual_cndmask_b32 v2, v2, v130, s9 :: v_dual_cndmask_b32 v3, v3, v45, s10
	v_dual_cndmask_b32 v14, v14, v10, s10 :: v_dual_cndmask_b32 v15, v15, v11, s10
	v_cmp_eq_u32_e64 s9, 0, v33
	s_delay_alu instid0(VALU_DEP_3) | instskip(NEXT) | instid1(VALU_DEP_3)
	v_dual_cndmask_b32 v2, v2, v56, s10 :: v_dual_cndmask_b32 v3, v3, v49, s11
	v_dual_cndmask_b32 v14, v14, v48, s11 :: v_dual_cndmask_b32 v31, v31, v79, vcc_lo
	v_cndmask_b32_e64 v26, v26, v12, s2
	s_delay_alu instid0(VALU_DEP_3) | instskip(SKIP_2) | instid1(VALU_DEP_3)
	v_dual_cndmask_b32 v2, v2, v54, s11 :: v_dual_cndmask_b32 v3, v3, v59, s12
	v_dual_cndmask_b32 v15, v15, v34, s11 :: v_dual_cndmask_b32 v29, v29, v13, vcc_lo
	v_cndmask_b32_e32 v28, v28, v12, vcc_lo
	v_cndmask_b32_e64 v16, v2, v52, s12
	s_delay_alu instid0(VALU_DEP_3) | instskip(SKIP_2) | instid1(VALU_DEP_3)
	v_dual_cndmask_b32 v14, v14, v46, s12 :: v_dual_cndmask_b32 v15, v15, v63, s12
	v_cndmask_b32_e64 v3, v3, v57, s13
	v_dual_cndmask_b32 v51, v51, v79, s2 :: v_dual_cndmask_b32 v53, v53, v79, s3
	v_dual_cndmask_b32 v2, v14, v44, s13 :: v_dual_cndmask_b32 v15, v15, v61, s13
	;; [unrolled: 1-line block ×3, first 2 shown]
	v_cndmask_b32_e64 v25, v77, v13, s3
	v_dual_cndmask_b32 v24, v73, v12, s3 :: v_dual_cndmask_b32 v55, v55, v79, s4
	v_dual_cndmask_b32 v23, v76, v13, s4 :: v_dual_cndmask_b32 v22, v71, v12, s4
	v_cndmask_b32_e64 v127, v110, v79, s5
	v_dual_cndmask_b32 v19, v74, v13, s6 :: v_dual_cndmask_b32 v18, v67, v12, s6
	v_dual_cndmask_b32 v111, v111, v79, s7 :: v_dual_cndmask_b32 v17, v72, v13, s7
	;; [unrolled: 1-line block ×3, first 2 shown]
	v_cndmask_b32_e64 v115, v114, v79, s9
	v_dual_cndmask_b32 v124, v58, v78, s6 :: v_dual_cndmask_b32 v110, v60, v78, s7
	v_dual_cndmask_b32 v30, v30, v78, vcc_lo :: v_dual_cndmask_b32 v60, v41, v78, s3
	v_cndmask_b32_e64 v58, v42, v78, s4
	v_fmac_f64_e32 v[80:81], v[2:3], v[20:21]
	v_fmac_f64_e32 v[134:135], v[14:15], v[20:21]
	v_lshl_add_u32 v2, v33, 2, v133
	v_dual_cndmask_b32 v21, v75, v13, s5 :: v_dual_cndmask_b32 v20, v69, v12, s5
	v_dual_cndmask_b32 v125, v112, v79, s6 :: v_dual_cndmask_b32 v15, v70, v13, s8
	v_cndmask_b32_e64 v14, v65, v12, s8
	ds_load_b32 v2, v2 offset:40
	v_cndmask_b32_e64 v13, v68, v13, s9
	v_dual_cndmask_b32 v12, v64, v12, s9 :: v_dual_cndmask_b32 v126, v43, v78, s5
	v_dual_cndmask_b32 v112, v62, v78, s8 :: v_dual_cndmask_b32 v114, v32, v78, s9
	v_cndmask_b32_e64 v62, v40, v78, s2
	s_wait_dscnt 0x0
	scratch_store_b32 off, v2, off offset:4
	v_dual_cndmask_b32 v123, v123, v81, s5 :: v_dual_cndmask_b32 v122, v122, v80, s5
	v_dual_cndmask_b32 v121, v121, v81, s6 :: v_dual_cndmask_b32 v120, v120, v80, s6
	;; [unrolled: 1-line block ×7, first 2 shown]
	s_wait_xcnt 0x0
	v_dual_cndmask_b32 v3, v137, v135, s7 :: v_dual_cndmask_b32 v2, v136, v134, s7
	v_dual_cndmask_b32 v117, v117, v135, s8 :: v_dual_cndmask_b32 v116, v116, v134, s8
	;; [unrolled: 1-line block ×3, first 2 shown]
	v_dual_cndmask_b32 v57, v57, v81 :: v_dual_cndmask_b32 v44, v44, v80
	v_dual_cndmask_b32 v59, v59, v81, s2 :: v_dual_cndmask_b32 v46, v46, v80, s2
	v_dual_cndmask_b32 v49, v49, v81, s3 :: v_dual_cndmask_b32 v48, v48, v80, s3
	;; [unrolled: 1-line block ×3, first 2 shown]
	v_dual_cndmask_b32 v61, v61, v135 :: v_dual_cndmask_b32 v50, v50, v134
	v_dual_cndmask_b32 v63, v63, v135, s2 :: v_dual_cndmask_b32 v52, v52, v134, s2
	v_dual_cndmask_b32 v47, v34, v135, s3 :: v_dual_cndmask_b32 v11, v11, v135, s4
	;; [unrolled: 1-line block ×3, first 2 shown]
.LBB0_38:
	s_or_b32 exec_lo, exec_lo, s33
	scratch_store_b32 off, v36, off
	s_wait_xcnt 0x0
	s_and_saveexec_b32 s2, s0
	s_cbranch_execz .LBB0_47
; %bb.39:
	s_mov_b32 s3, 0
	s_branch .LBB0_41
.LBB0_40:                               ;   in Loop: Header=BB0_41 Depth=1
	s_wait_xcnt 0x0
	s_or_b32 exec_lo, exec_lo, s5
	s_wait_dscnt 0x0
	v_cmp_gt_i32_e32 vcc_lo, 0, v32
	v_mov_b32_e32 v38, v32
	s_or_b32 s3, vcc_lo, s3
	s_delay_alu instid0(SALU_CYCLE_1)
	s_and_not1_b32 exec_lo, exec_lo, s3
	s_cbranch_execz .LBB0_47
.LBB0_41:                               ; =>This Inner Loop Header: Depth=1
	s_delay_alu instid0(VALU_DEP_1) | instskip(SKIP_4) | instid1(VALU_DEP_2)
	v_cmp_eq_u32_e32 vcc_lo, 1, v38
	s_mov_b32 s4, 0
	s_mov_b32 s5, exec_lo
	v_dual_cndmask_b32 v32, v13, v15, vcc_lo :: v_dual_cndmask_b32 v34, v12, v14, vcc_lo
	v_cmp_eq_u32_e32 vcc_lo, 2, v38
	v_dual_cndmask_b32 v32, v32, v17, vcc_lo :: v_dual_cndmask_b32 v34, v34, v16, vcc_lo
	v_cmp_eq_u32_e32 vcc_lo, 3, v38
	s_delay_alu instid0(VALU_DEP_2) | instskip(SKIP_1) | instid1(VALU_DEP_2)
	v_dual_cndmask_b32 v32, v32, v19, vcc_lo :: v_dual_cndmask_b32 v34, v34, v18, vcc_lo
	v_cmp_eq_u32_e32 vcc_lo, 4, v38
	v_dual_cndmask_b32 v32, v32, v21, vcc_lo :: v_dual_cndmask_b32 v34, v34, v20, vcc_lo
	v_cmp_eq_u32_e32 vcc_lo, 5, v38
	s_delay_alu instid0(VALU_DEP_2) | instskip(SKIP_1) | instid1(VALU_DEP_2)
	v_dual_cndmask_b32 v32, v32, v23, vcc_lo :: v_dual_cndmask_b32 v34, v34, v22, vcc_lo
	v_cmp_eq_u32_e32 vcc_lo, 6, v38
	v_dual_cndmask_b32 v32, v32, v25, vcc_lo :: v_dual_cndmask_b32 v34, v34, v24, vcc_lo
	v_cmp_eq_u32_e32 vcc_lo, 7, v38
	s_delay_alu instid0(VALU_DEP_2) | instskip(SKIP_1) | instid1(VALU_DEP_2)
	v_dual_cndmask_b32 v32, v32, v27, vcc_lo :: v_dual_cndmask_b32 v34, v34, v26, vcc_lo
	v_cmp_eq_u32_e32 vcc_lo, 8, v38
	v_dual_cndmask_b32 v41, v32, v29 :: v_dual_cndmask_b32 v40, v34, v28
	v_lshl_add_u32 v34, v38, 2, v133
	ds_load_b32 v32, v34 offset:40
	v_cmpx_ngt_f64_e32 0, v[40:41]
	s_xor_b32 s5, exec_lo, s5
	s_cbranch_execnz .LBB0_44
; %bb.42:                               ;   in Loop: Header=BB0_41 Depth=1
	s_or_saveexec_b32 s5, s5
	v_mov_b32_e32 v36, 0
	s_xor_b32 exec_lo, exec_lo, s5
	s_cbranch_execnz .LBB0_45
.LBB0_43:                               ;   in Loop: Header=BB0_41 Depth=1
	s_or_b32 exec_lo, exec_lo, s5
	s_and_saveexec_b32 s5, s4
	s_cbranch_execz .LBB0_40
	s_branch .LBB0_46
.LBB0_44:                               ;   in Loop: Header=BB0_41 Depth=1
	scratch_load_b32 v34, off, off
	s_wait_loadcnt 0x0
	v_cmp_eq_u32_e32 vcc_lo, -1, v34
                                        ; implicit-def: $vgpr34
	s_and_b32 s4, vcc_lo, exec_lo
	s_wait_xcnt 0x0
	s_or_saveexec_b32 s5, s5
	v_mov_b32_e32 v36, 0
	s_xor_b32 exec_lo, exec_lo, s5
	s_cbranch_execz .LBB0_43
.LBB0_45:                               ;   in Loop: Header=BB0_41 Depth=1
	scratch_load_b32 v40, off, off offset:4
	v_mov_b32_e32 v36, 4
	s_or_b32 s4, s4, exec_lo
	s_wait_loadcnt 0x0
	ds_store_b32 v34, v40 offset:40
	s_wait_xcnt 0x0
	s_or_b32 exec_lo, exec_lo, s5
	s_and_saveexec_b32 s5, s4
	s_cbranch_execz .LBB0_40
.LBB0_46:                               ;   in Loop: Header=BB0_41 Depth=1
	scratch_store_b32 v36, v38, off
	s_branch .LBB0_40
.LBB0_47:
	s_or_b32 exec_lo, exec_lo, s2
	s_and_saveexec_b32 s2, s1
	s_cbranch_execz .LBB0_49
; %bb.48:
	v_cmp_gt_f64_e32 vcc_lo, 0, v[0:1]
	v_lshl_add_u32 v0, v39, 2, v133
	v_lshl_add_u32 v1, v37, 2, v133
	;; [unrolled: 1-line block ×3, first 2 shown]
	s_and_b32 s0, s0, vcc_lo
	s_delay_alu instid0(SALU_CYCLE_1) | instskip(NEXT) | instid1(SALU_CYCLE_1)
	s_or_b32 s0, s31, s0
	v_cndmask_b32_e64 v32, v35, -1, s0
	ds_store_b32 v0, v37 offset:40
	ds_store_b32 v1, v33 offset:40
	;; [unrolled: 1-line block ×3, first 2 shown]
.LBB0_49:
	s_or_b32 exec_lo, exec_lo, s2
	scratch_load_b32 v38, off, off
	v_mov_b64_e32 v[34:35], -1
	s_mov_b32 s31, 0
	v_dual_mov_b32 v39, -1 :: v_dual_mov_b32 v40, -1
	s_wait_loadcnt 0x0
	v_cmp_eq_u32_e32 vcc_lo, 1, v38
	v_cmp_eq_u32_e64 s0, 2, v38
	v_dual_cndmask_b32 v0, v109, v107 :: v_dual_cndmask_b32 v1, v108, v106
	v_cmp_eq_u32_e32 vcc_lo, 3, v38
	s_delay_alu instid0(VALU_DEP_2) | instskip(SKIP_1) | instid1(VALU_DEP_2)
	v_dual_cndmask_b32 v0, v0, v105, s0 :: v_dual_cndmask_b32 v1, v1, v104, s0
	v_cmp_lt_i32_e64 s0, -1, v38
	v_dual_cndmask_b32 v0, v0, v121 :: v_dual_cndmask_b32 v1, v1, v120
	v_cmp_eq_u32_e32 vcc_lo, 4, v38
	s_delay_alu instid0(VALU_DEP_2) | instskip(SKIP_1) | instid1(VALU_DEP_2)
	v_dual_cndmask_b32 v0, v0, v123 :: v_dual_cndmask_b32 v1, v1, v122
	v_cmp_eq_u32_e32 vcc_lo, 5, v38
	v_dual_cndmask_b32 v0, v0, v45 :: v_dual_cndmask_b32 v1, v1, v10
	v_cmp_eq_u32_e32 vcc_lo, 6, v38
	s_delay_alu instid0(VALU_DEP_2) | instskip(SKIP_1) | instid1(VALU_DEP_2)
	v_dual_cndmask_b32 v0, v0, v49 :: v_dual_cndmask_b32 v1, v1, v48
	v_cmp_eq_u32_e32 vcc_lo, 7, v38
	v_dual_cndmask_b32 v0, v0, v59, vcc_lo :: v_dual_cndmask_b32 v32, v1, v46, vcc_lo
	v_cmp_eq_u32_e32 vcc_lo, 8, v38
	s_delay_alu instid0(VALU_DEP_2) | instskip(NEXT) | instid1(VALU_DEP_3)
	v_cndmask_b32_e32 v1, v0, v57, vcc_lo
	v_cndmask_b32_e32 v0, v32, v44, vcc_lo
	v_mov_b64_e32 v[32:33], -1
	s_wait_xcnt 0x0
	s_and_saveexec_b32 s5, s0
	s_cbranch_execz .LBB0_53
; %bb.50:
	v_mov_b64_e32 v[36:37], v[0:1]
	v_dual_mov_b32 v39, -1 :: v_dual_mov_b32 v33, v38
	v_dual_mov_b32 v32, -1 :: v_dual_mov_b32 v34, -1
	v_mov_b32_e32 v40, -1
	s_mov_b32 s6, 0
                                        ; implicit-def: $sgpr7
.LBB0_51:                               ; =>This Inner Loop Header: Depth=1
	s_delay_alu instid0(VALU_DEP_3)
	v_lshl_add_u32 v35, v33, 2, v133
	v_cmp_le_f64_e32 vcc_lo, 0, v[36:37]
	v_cmp_gt_f64_e64 s1, 0, v[36:37]
	ds_load_b32 v35, v35 offset:40
	s_wait_dscnt 0x0
	v_cmp_gt_i32_e64 s2, 0, v35
	s_delay_alu instid0(VALU_DEP_1) | instskip(NEXT) | instid1(VALU_DEP_1)
	v_cndmask_b32_e64 v41, v35, v38, s2
	v_cmp_eq_u32_e64 s3, 1, v41
	s_delay_alu instid0(VALU_DEP_1) | instskip(SKIP_3) | instid1(VALU_DEP_2)
	v_cndmask_b32_e64 v36, v109, v107, s3
	v_cmp_eq_u32_e64 s4, 2, v41
	v_cndmask_b32_e64 v37, v108, v106, s3
	v_cmp_eq_u32_e64 s3, 3, v41
	v_dual_cndmask_b32 v36, v36, v105, s4 :: v_dual_cndmask_b32 v37, v37, v104, s4
	s_delay_alu instid0(VALU_DEP_1) | instskip(SKIP_1) | instid1(VALU_DEP_1)
	v_dual_cndmask_b32 v36, v36, v121, s3 :: v_dual_cndmask_b32 v37, v37, v120, s3
	v_cmp_eq_u32_e64 s3, 4, v41
	v_dual_cndmask_b32 v36, v36, v123, s3 :: v_dual_cndmask_b32 v37, v37, v122, s3
	v_cmp_eq_u32_e64 s3, 5, v41
	s_delay_alu instid0(VALU_DEP_1) | instskip(SKIP_1) | instid1(VALU_DEP_1)
	v_dual_cndmask_b32 v36, v36, v45, s3 :: v_dual_cndmask_b32 v37, v37, v10, s3
	v_cmp_eq_u32_e64 s3, 6, v41
	v_dual_cndmask_b32 v36, v36, v49, s3 :: v_dual_cndmask_b32 v37, v37, v48, s3
	v_cmp_eq_u32_e64 s3, 7, v41
	s_delay_alu instid0(VALU_DEP_1) | instskip(SKIP_1) | instid1(VALU_DEP_1)
	v_dual_cndmask_b32 v36, v36, v59, s3 :: v_dual_cndmask_b32 v42, v37, v46, s3
	v_cmp_eq_u32_e64 s3, 8, v41
	v_dual_cndmask_b32 v37, v36, v57, s3 :: v_dual_cndmask_b32 v36, v42, v44, s3
	s_delay_alu instid0(VALU_DEP_1) | instskip(SKIP_3) | instid1(SALU_CYCLE_1)
	v_cmp_gt_f64_e64 s3, 0, v[36:37]
	v_cmp_le_f64_e64 s4, 0, v[36:37]
	s_and_b32 vcc_lo, vcc_lo, s3
	s_and_b32 s3, s1, s4
	v_dual_cndmask_b32 v34, v34, v41, vcc_lo :: v_dual_cndmask_b32 v40, v40, v41, s3
	v_dual_cndmask_b32 v39, v39, v33, vcc_lo :: v_dual_cndmask_b32 v32, v32, v33, s3
	s_or_b32 s6, s2, s6
	v_mov_b32_e32 v33, v35
	s_and_not1_b32 s2, s7, exec_lo
	s_and_b32 s1, s1, exec_lo
	s_delay_alu instid0(SALU_CYCLE_1)
	s_or_b32 s7, s2, s1
	s_and_not1_b32 exec_lo, exec_lo, s6
	s_cbranch_execnz .LBB0_51
; %bb.52:
	s_or_b32 exec_lo, exec_lo, s6
	s_delay_alu instid0(SALU_CYCLE_1)
	s_and_b32 s31, s7, exec_lo
.LBB0_53:
	s_or_b32 exec_lo, exec_lo, s5
	v_dual_mov_b32 v33, -1 :: v_dual_mov_b32 v36, -1
	v_cmp_lt_i32_e64 s1, -1, v39
	v_mov_b32_e32 v35, -1
	s_and_saveexec_b32 s33, s1
	s_cbranch_execz .LBB0_55
; %bb.54:
	v_cmp_eq_u32_e64 s2, 1, v34
	v_cmp_eq_u32_e64 s3, 2, v34
	;; [unrolled: 1-line block ×5, first 2 shown]
	v_cndmask_b32_e64 v35, v109, v107, s2
	v_cmp_eq_u32_e64 s7, 6, v34
	v_cmp_eq_u32_e64 s8, 7, v34
	;; [unrolled: 1-line block ×3, first 2 shown]
	s_delay_alu instid0(VALU_DEP_4) | instskip(SKIP_3) | instid1(VALU_DEP_4)
	v_dual_cndmask_b32 v34, v108, v106, s2 :: v_dual_cndmask_b32 v35, v35, v105, s3
	v_cmp_eq_u32_e64 s10, 1, v39
	v_cmp_eq_u32_e64 s11, 2, v39
	;; [unrolled: 1-line block ×3, first 2 shown]
	v_dual_cndmask_b32 v34, v34, v104, s3 :: v_dual_cndmask_b32 v35, v35, v121, s4
	v_cmp_eq_u32_e64 s13, 4, v39
	v_cmp_eq_u32_e64 s15, 5, v39
	;; [unrolled: 1-line block ×3, first 2 shown]
	s_delay_alu instid0(VALU_DEP_4) | instskip(SKIP_2) | instid1(VALU_DEP_3)
	v_dual_cndmask_b32 v34, v34, v120, s4 :: v_dual_cndmask_b32 v35, v35, v123, s5
	v_cmp_eq_u32_e64 s17, 7, v39
	v_cmp_eq_u32_e64 s18, 8, v39
	v_dual_cndmask_b32 v34, v34, v122, s5 :: v_dual_cndmask_b32 v35, v35, v45, s6
	s_delay_alu instid0(VALU_DEP_1) | instskip(NEXT) | instid1(VALU_DEP_1)
	v_dual_cndmask_b32 v34, v34, v10, s6 :: v_dual_cndmask_b32 v35, v35, v49, s7
	v_dual_cndmask_b32 v34, v34, v48, s7 :: v_dual_cndmask_b32 v35, v35, v59, s8
	s_delay_alu instid0(VALU_DEP_1) | instskip(NEXT) | instid1(VALU_DEP_1)
	v_dual_cndmask_b32 v34, v34, v46, s8 :: v_dual_cndmask_b32 v65, v35, v57, s9
	;; [unrolled: 3-line block ×6, first 2 shown]
	v_cndmask_b32_e64 v67, v34, v57, s18
	v_add_f64_e64 v[34:35], -v[64:65], 0
	s_delay_alu instid0(VALU_DEP_2) | instskip(NEXT) | instid1(VALU_DEP_1)
	v_add_f64_e64 v[36:37], v[66:67], -v[64:65]
	v_div_scale_f64 v[42:43], null, v[36:37], v[36:37], v[34:35]
	s_delay_alu instid0(VALU_DEP_1) | instskip(SKIP_1) | instid1(TRANS32_DEP_1)
	v_rcp_f64_e32 v[68:69], v[42:43]
	v_nop
	v_fma_f64 v[70:71], -v[42:43], v[68:69], 1.0
	s_delay_alu instid0(VALU_DEP_1) | instskip(NEXT) | instid1(VALU_DEP_1)
	v_fmac_f64_e32 v[68:69], v[68:69], v[70:71]
	v_fma_f64 v[70:71], -v[42:43], v[68:69], 1.0
	s_delay_alu instid0(VALU_DEP_1) | instskip(SKIP_1) | instid1(VALU_DEP_1)
	v_fmac_f64_e32 v[68:69], v[68:69], v[70:71]
	v_div_scale_f64 v[70:71], vcc_lo, v[34:35], v[36:37], v[34:35]
	v_mul_f64_e32 v[72:73], v[70:71], v[68:69]
	s_delay_alu instid0(VALU_DEP_1) | instskip(NEXT) | instid1(VALU_DEP_1)
	v_fma_f64 v[42:43], -v[42:43], v[72:73], v[70:71]
	v_div_fmas_f64 v[42:43], v[42:43], v[68:69], v[72:73]
	s_delay_alu instid0(VALU_DEP_1) | instskip(SKIP_2) | instid1(VALU_DEP_2)
	v_div_fixup_f64 v[68:69], v[42:43], v[36:37], v[34:35]
	v_dual_cndmask_b32 v34, v115, v113, s10 :: v_dual_cndmask_b32 v35, v114, v112, s10
	v_cndmask_b32_e64 v43, v13, v15, s2
	v_dual_cndmask_b32 v34, v34, v111, s11 :: v_dual_cndmask_b32 v35, v35, v110, s11
	s_delay_alu instid0(VALU_DEP_2) | instskip(NEXT) | instid1(VALU_DEP_2)
	v_cndmask_b32_e64 v43, v43, v17, s3
	v_dual_cndmask_b32 v34, v34, v125, s12 :: v_dual_cndmask_b32 v35, v35, v124, s12
	s_delay_alu instid0(VALU_DEP_2) | instskip(NEXT) | instid1(VALU_DEP_2)
	v_cndmask_b32_e64 v43, v43, v19, s4
	v_dual_cndmask_b32 v34, v34, v127, s13 :: v_dual_cndmask_b32 v35, v35, v126, s13
	s_delay_alu instid0(VALU_DEP_1) | instskip(NEXT) | instid1(VALU_DEP_2)
	v_dual_cndmask_b32 v43, v43, v21, s5 :: v_dual_cndmask_b32 v34, v34, v55, s15
	v_cndmask_b32_e64 v35, v35, v58, s15
	s_delay_alu instid0(VALU_DEP_2) | instskip(NEXT) | instid1(VALU_DEP_2)
	v_dual_cndmask_b32 v43, v43, v23, s6 :: v_dual_cndmask_b32 v34, v34, v53, s16
	v_cndmask_b32_e64 v35, v35, v60, s16
	s_delay_alu instid0(VALU_DEP_2) | instskip(NEXT) | instid1(VALU_DEP_2)
	v_dual_cndmask_b32 v43, v43, v25, s7 :: v_dual_cndmask_b32 v34, v34, v51, s17
	v_cndmask_b32_e64 v35, v35, v62, s17
	v_add_f64_e64 v[70:71], -v[68:69], 1.0
	s_delay_alu instid0(VALU_DEP_3) | instskip(NEXT) | instid1(VALU_DEP_3)
	v_cndmask_b32_e64 v43, v43, v27, s8
	v_dual_cndmask_b32 v37, v34, v31, s18 :: v_dual_cndmask_b32 v36, v35, v30, s18
	v_dual_cndmask_b32 v34, v115, v113, s2 :: v_dual_cndmask_b32 v35, v114, v112, s2
	s_delay_alu instid0(VALU_DEP_3) | instskip(NEXT) | instid1(VALU_DEP_2)
	v_dual_cndmask_b32 v73, v43, v29, s9 :: v_dual_cndmask_b32 v43, v13, v15, s10
	v_dual_cndmask_b32 v34, v34, v111, s3 :: v_dual_cndmask_b32 v35, v35, v110, s3
	s_delay_alu instid0(VALU_DEP_2) | instskip(NEXT) | instid1(VALU_DEP_2)
	v_cndmask_b32_e64 v43, v43, v17, s11
	v_dual_cndmask_b32 v34, v34, v125, s4 :: v_dual_cndmask_b32 v35, v35, v124, s4
	s_delay_alu instid0(VALU_DEP_1) | instskip(NEXT) | instid1(VALU_DEP_1)
	v_dual_cndmask_b32 v34, v34, v127, s5 :: v_dual_cndmask_b32 v35, v35, v126, s5
	v_dual_cndmask_b32 v34, v34, v55, s6 :: v_dual_cndmask_b32 v35, v35, v58, s6
	s_delay_alu instid0(VALU_DEP_1) | instskip(NEXT) | instid1(VALU_DEP_1)
	v_dual_cndmask_b32 v34, v34, v53, s7 :: v_dual_cndmask_b32 v35, v35, v60, s7
	v_dual_cndmask_b32 v34, v34, v51, s8 :: v_dual_cndmask_b32 v41, v35, v62, s8
	s_delay_alu instid0(VALU_DEP_1) | instskip(NEXT) | instid1(VALU_DEP_1)
	v_dual_cndmask_b32 v35, v34, v31, s9 :: v_dual_cndmask_b32 v34, v41, v30, s9
	v_mul_f64_e32 v[34:35], v[34:35], v[70:71]
	s_delay_alu instid0(VALU_DEP_1)
	v_fmac_f64_e32 v[34:35], v[36:37], v[68:69]
	scratch_load_b32 v36, off, off offset:4
	s_wait_loadcnt 0x0
	v_cmp_eq_u32_e64 s14, 5, v36
	v_cmp_eq_u32_e64 s24, 8, v36
	v_cmp_eq_u32_e64 s25, 7, v36
	v_cmp_eq_u32_e32 vcc_lo, 6, v36
	v_cmp_eq_u32_e64 s19, 3, v36
	v_cndmask_b32_e64 v42, v58, v34, s14
	v_cndmask_b32_e64 v58, v12, v14, s2
	;; [unrolled: 1-line block ×4, first 2 shown]
	v_cmp_eq_u32_e64 s20, 2, v36
	v_cmp_eq_u32_e64 s21, 1, v36
	v_cndmask_b32_e64 v58, v58, v16, s3
	v_cmp_eq_u32_e64 s22, 0, v36
	v_cmp_eq_u32_e64 s23, 4, v36
	v_dual_cndmask_b32 v41, v60, v34, vcc_lo :: v_dual_cndmask_b32 v60, v110, v34, s20
	v_cndmask_b32_e64 v62, v112, v34, s21
	v_dual_cndmask_b32 v58, v58, v18, s4 :: v_dual_cndmask_b32 v31, v31, v35, s24
	v_dual_cndmask_b32 v53, v53, v35, vcc_lo :: v_dual_cndmask_b32 v111, v111, v35, s20
	s_delay_alu instid0(VALU_DEP_2) | instskip(NEXT) | instid1(VALU_DEP_1)
	v_dual_cndmask_b32 v113, v113, v35, s21 :: v_dual_cndmask_b32 v58, v58, v20, s5
	v_dual_cndmask_b32 v115, v115, v35, s22 :: v_dual_cndmask_b32 v58, v58, v22, s6
	s_delay_alu instid0(VALU_DEP_1) | instskip(NEXT) | instid1(VALU_DEP_1)
	v_cndmask_b32_e64 v58, v58, v24, s7
	v_cndmask_b32_e64 v58, v58, v26, s8
	s_delay_alu instid0(VALU_DEP_1) | instskip(SKIP_1) | instid1(VALU_DEP_2)
	v_dual_cndmask_b32 v72, v58, v28, s9 :: v_dual_cndmask_b32 v58, v12, v14, s10
	v_cndmask_b32_e64 v43, v43, v19, s12
	v_dual_mul_f64 v[72:73], v[72:73], v[70:71] :: v_dual_cndmask_b32 v58, v58, v16, s11
	s_delay_alu instid0(VALU_DEP_1) | instskip(NEXT) | instid1(VALU_DEP_1)
	v_dual_cndmask_b32 v43, v43, v21, s13 :: v_dual_cndmask_b32 v58, v58, v18, s12
	v_dual_cndmask_b32 v43, v43, v23, s15 :: v_dual_cndmask_b32 v58, v58, v20, s13
	s_delay_alu instid0(VALU_DEP_1) | instskip(NEXT) | instid1(VALU_DEP_1)
	v_dual_cndmask_b32 v43, v43, v25, s16 :: v_dual_cndmask_b32 v58, v58, v22, s15
	v_dual_cndmask_b32 v43, v43, v27, s17 :: v_dual_cndmask_b32 v58, v58, v24, s16
	s_delay_alu instid0(VALU_DEP_1) | instskip(NEXT) | instid1(VALU_DEP_2)
	v_dual_cndmask_b32 v75, v43, v29, s18 :: v_dual_cndmask_b32 v43, v126, v34, s23
	v_cndmask_b32_e64 v58, v58, v26, s17
	s_delay_alu instid0(VALU_DEP_1) | instskip(NEXT) | instid1(VALU_DEP_1)
	v_dual_cndmask_b32 v74, v58, v28, s18 :: v_dual_cndmask_b32 v58, v124, v34, s19
	v_fmac_f64_e32 v[72:73], v[74:75], v[68:69]
	s_delay_alu instid0(VALU_DEP_1)
	v_dual_cndmask_b32 v34, v114, v34, s22 :: v_dual_cndmask_b32 v76, v24, v72, vcc_lo
	v_dual_cndmask_b32 v74, v28, v72, s24 :: v_dual_cndmask_b32 v75, v26, v72, s25
	v_dual_cndmask_b32 v78, v20, v72, s23 :: v_dual_cndmask_b32 v77, v22, v72, s14
	;; [unrolled: 1-line block ×5, first 2 shown]
	v_dual_cndmask_b32 v114, v25, v73, vcc_lo :: v_dual_cndmask_b32 v124, v23, v73, s14
	v_dual_cndmask_b32 v126, v21, v73, s23 :: v_dual_cndmask_b32 v134, v19, v73, s19
	v_dual_cndmask_b32 v135, v17, v73, s20 :: v_dual_cndmask_b32 v136, v15, v73, s21
	v_cndmask_b32_e64 v73, v13, v73, s22
	v_dual_mul_f64 v[12:13], v[64:65], v[70:71] :: v_dual_cndmask_b32 v14, v118, v116, s2
	s_delay_alu instid0(VALU_DEP_1) | instskip(NEXT) | instid1(VALU_DEP_2)
	v_cndmask_b32_e64 v14, v14, v2, s3
	v_fmac_f64_e32 v[12:13], v[66:67], v[68:69]
	v_cndmask_b32_e64 v51, v51, v35, s25
	s_delay_alu instid0(VALU_DEP_2) | instskip(SKIP_4) | instid1(VALU_DEP_3)
	v_dual_cndmask_b32 v55, v55, v35, s14 :: v_dual_cndmask_b32 v138, v46, v12, s25
	v_dual_cndmask_b32 v48, v48, v12, vcc_lo :: v_dual_cndmask_b32 v139, v10, v12, s14
	v_cndmask_b32_e64 v10, v119, v117, s2
	v_cndmask_b32_e32 v49, v49, v13, vcc_lo
	v_dual_cndmask_b32 v140, v45, v13, s14 :: v_dual_cndmask_b32 v108, v108, v12, s22
	v_dual_cndmask_b32 v109, v109, v13, s22 :: v_dual_cndmask_b32 v10, v10, v3, s3
	;; [unrolled: 1-line block ×3, first 2 shown]
	v_cndmask_b32_e64 v105, v105, v13, s20
	v_cmp_eq_u32_e64 s3, 4, v40
	s_delay_alu instid0(VALU_DEP_4) | instskip(SKIP_1) | instid1(VALU_DEP_2)
	v_cndmask_b32_e64 v10, v10, v129, s4
	v_cmp_eq_u32_e64 s2, 3, v40
	v_dual_cndmask_b32 v137, v44, v12, s24 :: v_dual_cndmask_b32 v10, v10, v131, s5
	s_delay_alu instid0(VALU_DEP_1) | instskip(NEXT) | instid1(VALU_DEP_1)
	v_cndmask_b32_e64 v10, v10, v11, s6
	v_cndmask_b32_e64 v10, v10, v47, s7
	s_delay_alu instid0(VALU_DEP_1) | instskip(NEXT) | instid1(VALU_DEP_1)
	v_cndmask_b32_e64 v10, v10, v63, s8
	v_cndmask_b32_e64 v15, v10, v61, s9
	v_dual_cndmask_b32 v10, v119, v117, s10 :: v_dual_cndmask_b32 v14, v14, v128, s4
	v_cmp_eq_u32_e64 s4, 5, v40
	s_delay_alu instid0(VALU_DEP_2) | instskip(NEXT) | instid1(VALU_DEP_3)
	v_cndmask_b32_e64 v10, v10, v3, s11
	v_cndmask_b32_e64 v14, v14, v130, s5
	v_cmp_eq_u32_e64 s5, 6, v40
	s_delay_alu instid0(VALU_DEP_2) | instskip(SKIP_1) | instid1(VALU_DEP_2)
	v_cndmask_b32_e64 v14, v14, v56, s6
	v_cmp_eq_u32_e64 s6, 7, v40
	v_cndmask_b32_e64 v14, v14, v54, s7
	v_cmp_eq_u32_e64 s7, 8, v40
	s_delay_alu instid0(VALU_DEP_2) | instskip(SKIP_1) | instid1(VALU_DEP_2)
	v_cndmask_b32_e64 v14, v14, v52, s8
	v_cmp_eq_u32_e64 s8, 1, v32
	v_cndmask_b32_e64 v14, v14, v50, s9
	v_cmp_eq_u32_e64 s9, 4, v32
	s_delay_alu instid0(VALU_DEP_2) | instskip(SKIP_3) | instid1(VALU_DEP_2)
	v_mul_f64_e32 v[16:17], v[14:15], v[70:71]
	v_dual_cndmask_b32 v71, v106, v12, s21 :: v_dual_cndmask_b32 v106, v107, v13, s21
	v_dual_cndmask_b32 v10, v10, v129, s12 :: v_dual_cndmask_b32 v70, v104, v12, s20
	;; [unrolled: 1-line block ×4, first 2 shown]
	v_cmp_eq_u32_e64 s10, 5, v32
	v_cndmask_b32_e64 v121, v125, v35, s19
	s_delay_alu instid0(VALU_DEP_3) | instskip(NEXT) | instid1(VALU_DEP_1)
	v_cndmask_b32_e64 v10, v10, v11, s15
	v_cndmask_b32_e64 v10, v10, v47, s16
	s_delay_alu instid0(VALU_DEP_1) | instskip(NEXT) | instid1(VALU_DEP_1)
	v_cndmask_b32_e64 v10, v10, v63, s17
	v_dual_cndmask_b32 v15, v10, v61, s18 :: v_dual_cndmask_b32 v10, v109, v106, s8
	v_cndmask_b32_e64 v14, v14, v2, s11
	v_cmp_eq_u32_e64 s11, 6, v32
	s_delay_alu instid0(VALU_DEP_2) | instskip(SKIP_1) | instid1(VALU_DEP_2)
	v_cndmask_b32_e64 v14, v14, v128, s12
	v_cmp_eq_u32_e64 s12, 7, v32
	v_cndmask_b32_e64 v14, v14, v130, s13
	v_cmp_eq_u32_e64 s13, 8, v32
	s_delay_alu instid0(VALU_DEP_2) | instskip(SKIP_1) | instid1(VALU_DEP_2)
	v_cndmask_b32_e64 v14, v14, v56, s15
	v_cmp_eq_u32_e64 s15, 3, v32
	v_cndmask_b32_e64 v14, v14, v54, s16
	v_cmp_eq_u32_e64 s16, 2, v32
	s_delay_alu instid0(VALU_DEP_2) | instskip(SKIP_1) | instid1(VALU_DEP_2)
	v_cndmask_b32_e64 v14, v14, v52, s17
	v_cmp_eq_u32_e64 s17, 2, v40
	v_cndmask_b32_e64 v14, v14, v50, s18
	v_cmp_eq_u32_e64 s18, 1, v40
	s_delay_alu instid0(VALU_DEP_2) | instskip(NEXT) | instid1(VALU_DEP_2)
	v_fmac_f64_e32 v[16:17], v[14:15], v[68:69]
	v_dual_cndmask_b32 v13, v109, v106, s18 :: v_dual_cndmask_b32 v68, v122, v12, s23
	v_dual_cndmask_b32 v69, v120, v12, s19 :: v_dual_cndmask_b32 v120, v127, v35, s23
	s_delay_alu instid0(VALU_DEP_2) | instskip(NEXT) | instid1(VALU_DEP_1)
	v_cndmask_b32_e64 v13, v13, v105, s17
	v_cndmask_b32_e64 v13, v13, v107, s2
	s_delay_alu instid0(VALU_DEP_1) | instskip(NEXT) | instid1(VALU_DEP_1)
	v_cndmask_b32_e64 v13, v13, v104, s3
	v_cndmask_b32_e64 v13, v13, v140, s4
	s_delay_alu instid0(VALU_DEP_1) | instskip(NEXT) | instid1(VALU_DEP_1)
	v_cndmask_b32_e64 v13, v13, v49, s5
	v_dual_cndmask_b32 v13, v13, v59, s6 :: v_dual_cndmask_b32 v54, v54, v16, vcc_lo
	v_dual_cndmask_b32 v32, v47, v17, vcc_lo :: v_dual_cndmask_b32 v128, v128, v16, s19
	v_cndmask_b32_e64 v142, v11, v17, s14
	s_delay_alu instid0(VALU_DEP_3) | instskip(SKIP_2) | instid1(VALU_DEP_2)
	v_dual_cndmask_b32 v13, v13, v57, s7 :: v_dual_cndmask_b32 v12, v108, v71, s8
	v_dual_cndmask_b32 v14, v108, v71, s18 :: v_dual_cndmask_b32 v131, v131, v17, s23
	;; [unrolled: 1-line block ×5, first 2 shown]
	v_cndmask_b32_e64 v52, v52, v16, s25
	s_delay_alu instid0(VALU_DEP_3) | instskip(SKIP_1) | instid1(VALU_DEP_2)
	v_dual_cndmask_b32 v12, v12, v69, s15 :: v_dual_cndmask_b32 v14, v14, v69, s2
	v_dual_cndmask_b32 v56, v56, v16, s14 :: v_dual_cndmask_b32 v61, v61, v17, s24
	;; [unrolled: 1-line block ×3, first 2 shown]
	s_delay_alu instid0(VALU_DEP_3) | instskip(SKIP_2) | instid1(VALU_DEP_3)
	v_cndmask_b32_e64 v14, v14, v68, s3
	v_dual_cndmask_b32 v118, v118, v16, s22 :: v_dual_cndmask_b32 v119, v119, v17, s22
	v_cndmask_b32_e64 v116, v116, v16, s21
	v_dual_cndmask_b32 v12, v12, v139, s10 :: v_dual_cndmask_b32 v14, v14, v139, s4
	v_dual_cndmask_b32 v2, v115, v113, s18 :: v_dual_cndmask_b32 v3, v34, v62, s18
	s_delay_alu instid0(VALU_DEP_2) | instskip(NEXT) | instid1(VALU_DEP_3)
	v_dual_cndmask_b32 v129, v129, v17, s19 :: v_dual_cndmask_b32 v12, v12, v48, s11
	v_cndmask_b32_e64 v14, v14, v48, s5
	v_dual_cndmask_b32 v50, v50, v16, s24 :: v_dual_cndmask_b32 v16, v115, v113, s8
	v_cndmask_b32_e64 v17, v34, v62, s8
	s_delay_alu instid0(VALU_DEP_3) | instskip(SKIP_1) | instid1(VALU_DEP_3)
	v_dual_cndmask_b32 v12, v12, v138, s12 :: v_dual_cndmask_b32 v18, v14, v138, s6
	v_dual_cndmask_b32 v2, v2, v111, s17 :: v_dual_cndmask_b32 v3, v3, v60, s17
	;; [unrolled: 1-line block ×3, first 2 shown]
	s_delay_alu instid0(VALU_DEP_3) | instskip(SKIP_1) | instid1(VALU_DEP_3)
	v_dual_cndmask_b32 v14, v12, v137, s13 :: v_dual_cndmask_b32 v12, v18, v137, s7
	v_cndmask_b32_e64 v10, v10, v105, s16
	v_dual_cndmask_b32 v16, v16, v121, s15 :: v_dual_cndmask_b32 v17, v17, v58, s15
	s_delay_alu instid0(VALU_DEP_1) | instskip(NEXT) | instid1(VALU_DEP_1)
	v_dual_cndmask_b32 v10, v10, v107, s15 :: v_dual_cndmask_b32 v16, v16, v120, s9
	v_cndmask_b32_e64 v10, v10, v104, s9
	s_delay_alu instid0(VALU_DEP_1) | instskip(NEXT) | instid1(VALU_DEP_1)
	v_cndmask_b32_e64 v10, v10, v140, s10
	v_cndmask_b32_e64 v10, v10, v49, s11
	s_delay_alu instid0(VALU_DEP_1) | instskip(NEXT) | instid1(VALU_DEP_1)
	v_cndmask_b32_e64 v10, v10, v59, s12
	v_cndmask_b32_e64 v15, v10, v57, s13
	s_delay_alu instid0(VALU_DEP_1) | instskip(SKIP_1) | instid1(VALU_DEP_1)
	v_add_f64_e64 v[18:19], -v[14:15], 0
	v_add_f64_e64 v[20:21], v[12:13], -v[14:15]
	v_div_scale_f64 v[22:23], null, v[20:21], v[20:21], v[18:19]
	v_div_scale_f64 v[28:29], vcc_lo, v[18:19], v[20:21], v[18:19]
	s_delay_alu instid0(VALU_DEP_2) | instskip(SKIP_1) | instid1(TRANS32_DEP_1)
	v_rcp_f64_e32 v[24:25], v[22:23]
	v_nop
	v_fma_f64 v[26:27], -v[22:23], v[24:25], 1.0
	s_delay_alu instid0(VALU_DEP_1) | instskip(NEXT) | instid1(VALU_DEP_1)
	v_fmac_f64_e32 v[24:25], v[24:25], v[26:27]
	v_fma_f64 v[26:27], -v[22:23], v[24:25], 1.0
	s_delay_alu instid0(VALU_DEP_1) | instskip(NEXT) | instid1(VALU_DEP_1)
	v_fmac_f64_e32 v[24:25], v[24:25], v[26:27]
	v_mul_f64_e32 v[26:27], v[28:29], v[24:25]
	s_delay_alu instid0(VALU_DEP_1) | instskip(NEXT) | instid1(VALU_DEP_1)
	v_fma_f64 v[22:23], -v[22:23], v[26:27], v[28:29]
	v_div_fmas_f64 v[22:23], v[22:23], v[24:25], v[26:27]
	v_dual_cndmask_b32 v26, v2, v121, s2 :: v_dual_cndmask_b32 v27, v3, v58, s2
	v_dual_cndmask_b32 v24, v119, v117, s8 :: v_dual_cndmask_b32 v25, v118, v116, s8
	s_delay_alu instid0(VALU_DEP_1) | instskip(NEXT) | instid1(VALU_DEP_4)
	v_dual_cndmask_b32 v24, v24, v143, s16 :: v_dual_cndmask_b32 v25, v25, v141, s16
	v_div_fixup_f64 v[10:11], v[22:23], v[20:21], v[18:19]
	v_dual_cndmask_b32 v20, v73, v136, s8 :: v_dual_cndmask_b32 v18, v73, v136, s18
	v_dual_cndmask_b32 v19, v72, v81, s18 :: v_dual_cndmask_b32 v21, v72, v81, s8
	;; [unrolled: 1-line block ×3, first 2 shown]
	s_delay_alu instid0(VALU_DEP_3) | instskip(NEXT) | instid1(VALU_DEP_3)
	v_dual_cndmask_b32 v20, v20, v135, s16 :: v_dual_cndmask_b32 v18, v18, v135, s17
	v_dual_cndmask_b32 v19, v19, v80, s17 :: v_dual_cndmask_b32 v21, v21, v80, s16
	s_delay_alu instid0(VALU_DEP_3) | instskip(NEXT) | instid1(VALU_DEP_3)
	v_dual_cndmask_b32 v22, v22, v143, s17 :: v_dual_cndmask_b32 v23, v23, v141, s17
	v_dual_cndmask_b32 v20, v20, v134, s15 :: v_dual_cndmask_b32 v28, v18, v134, s2
	s_delay_alu instid0(VALU_DEP_3) | instskip(NEXT) | instid1(VALU_DEP_2)
	v_cndmask_b32_e64 v21, v21, v79, s15
	v_dual_cndmask_b32 v17, v17, v43, s9 :: v_dual_cndmask_b32 v18, v20, v126, s9
	s_delay_alu instid0(VALU_DEP_2) | instskip(NEXT) | instid1(VALU_DEP_2)
	v_dual_cndmask_b32 v16, v16, v55, s10 :: v_dual_cndmask_b32 v20, v21, v78, s9
	v_dual_cndmask_b32 v21, v19, v79, s2 :: v_dual_cndmask_b32 v17, v17, v42, s10
	s_delay_alu instid0(VALU_DEP_2) | instskip(NEXT) | instid1(VALU_DEP_3)
	v_dual_cndmask_b32 v18, v18, v124, s10 :: v_dual_cndmask_b32 v19, v20, v77, s10
	v_cndmask_b32_e64 v16, v16, v53, s11
	v_cndmask_b32_e64 v22, v22, v129, s2
	s_delay_alu instid0(VALU_DEP_3) | instskip(NEXT) | instid1(VALU_DEP_4)
	v_dual_cndmask_b32 v18, v18, v114, s11 :: v_dual_cndmask_b32 v17, v17, v41, s11
	v_dual_cndmask_b32 v19, v19, v76, s11 :: v_dual_cndmask_b32 v20, v24, v129, s15
	v_add_f64_e64 v[2:3], -v[10:11], 1.0
	s_delay_alu instid0(VALU_DEP_3) | instskip(NEXT) | instid1(VALU_DEP_3)
	v_dual_cndmask_b32 v16, v16, v51, s12 :: v_dual_cndmask_b32 v24, v17, v37, s12
	v_dual_cndmask_b32 v29, v19, v75, s12 :: v_dual_cndmask_b32 v25, v25, v128, s15
	s_delay_alu instid0(VALU_DEP_2) | instskip(NEXT) | instid1(VALU_DEP_3)
	v_dual_cndmask_b32 v18, v18, v112, s12 :: v_dual_cndmask_b32 v17, v16, v31, s13
	v_dual_cndmask_b32 v16, v24, v30, s13 :: v_dual_cndmask_b32 v24, v26, v120, s3
	s_delay_alu instid0(VALU_DEP_2) | instskip(NEXT) | instid1(VALU_DEP_4)
	v_dual_cndmask_b32 v26, v27, v43, s3 :: v_dual_cndmask_b32 v19, v18, v110, s13
	v_cndmask_b32_e64 v18, v29, v74, s13
	s_delay_alu instid0(VALU_DEP_3) | instskip(SKIP_1) | instid1(VALU_DEP_3)
	v_mul_f64_e32 v[44:45], v[16:17], v[2:3]
	v_dual_cndmask_b32 v16, v21, v78, s3 :: v_dual_cndmask_b32 v17, v20, v131, s9
	v_mul_f64_e32 v[46:47], v[18:19], v[2:3]
	v_dual_cndmask_b32 v19, v24, v55, s4 :: v_dual_cndmask_b32 v18, v25, v130, s9
	s_delay_alu instid0(VALU_DEP_3) | instskip(NEXT) | instid1(VALU_DEP_2)
	v_dual_cndmask_b32 v16, v16, v77, s4 :: v_dual_cndmask_b32 v17, v17, v142, s10
	v_dual_cndmask_b32 v20, v26, v42, s4 :: v_dual_cndmask_b32 v19, v19, v53, s5
	s_delay_alu instid0(VALU_DEP_3) | instskip(NEXT) | instid1(VALU_DEP_2)
	v_dual_cndmask_b32 v27, v28, v126, s3 :: v_dual_cndmask_b32 v18, v18, v56, s10
	v_dual_cndmask_b32 v17, v17, v32, s11 :: v_dual_cndmask_b32 v20, v20, v41, s5
	s_delay_alu instid0(VALU_DEP_4) | instskip(NEXT) | instid1(VALU_DEP_3)
	v_cndmask_b32_e64 v16, v16, v76, s5
	v_dual_cndmask_b32 v21, v27, v124, s4 :: v_dual_cndmask_b32 v18, v18, v54, s11
	s_delay_alu instid0(VALU_DEP_3) | instskip(NEXT) | instid1(VALU_DEP_4)
	v_dual_cndmask_b32 v19, v19, v51, s6 :: v_dual_cndmask_b32 v20, v20, v37, s6
	v_cndmask_b32_e64 v24, v17, v63, s12
	s_delay_alu instid0(VALU_DEP_3) | instskip(SKIP_1) | instid1(VALU_DEP_3)
	v_dual_cndmask_b32 v21, v21, v114, s5 :: v_dual_cndmask_b32 v18, v18, v52, s12
	v_cndmask_b32_e64 v25, v16, v75, s6
	v_dual_cndmask_b32 v17, v19, v31, s7 :: v_dual_cndmask_b32 v19, v24, v61, s13
	s_delay_alu instid0(VALU_DEP_3) | instskip(SKIP_2) | instid1(VALU_DEP_3)
	v_dual_cndmask_b32 v21, v21, v112, s6 :: v_dual_cndmask_b32 v18, v18, v50, s13
	v_cndmask_b32_e64 v16, v20, v30, s7
	v_mul_f64_e32 v[64:65], v[14:15], v[2:3]
	v_dual_cndmask_b32 v14, v22, v131, s3 :: v_dual_cndmask_b32 v21, v21, v110, s7
	s_delay_alu instid0(VALU_DEP_4)
	v_mul_f64_e32 v[66:67], v[18:19], v[2:3]
	v_cndmask_b32_e64 v2, v23, v128, s2
	v_fmac_f64_e32 v[44:45], v[16:17], v[10:11]
	v_lshl_add_u32 v3, v36, 2, v133
	ds_load_b32 v35, v3 offset:40
	s_wait_dscnt 0x0
	v_cmp_eq_u32_e32 vcc_lo, 8, v35
	v_cndmask_b32_e64 v3, v14, v142, s4
	v_cmp_eq_u32_e64 s2, 7, v35
	v_cmp_eq_u32_e64 s8, 1, v35
	;; [unrolled: 1-line block ×3, first 2 shown]
	v_dual_cndmask_b32 v31, v31, v45, vcc_lo :: v_dual_cndmask_b32 v2, v2, v130, s3
	v_dual_cndmask_b32 v3, v3, v32, s5 :: v_dual_cndmask_b32 v20, v25, v74, s7
	v_cmp_eq_u32_e64 s3, 6, v35
	s_delay_alu instid0(VALU_DEP_3) | instskip(NEXT) | instid1(VALU_DEP_3)
	v_dual_cndmask_b32 v51, v51, v45, s2 :: v_dual_cndmask_b32 v2, v2, v56, s4
	v_cndmask_b32_e64 v3, v3, v63, s6
	s_delay_alu instid0(VALU_DEP_4) | instskip(NEXT) | instid1(VALU_DEP_4)
	v_fmac_f64_e32 v[46:47], v[20:21], v[10:11]
	v_cndmask_b32_e64 v53, v53, v45, s3
	v_fmac_f64_e32 v[64:65], v[12:13], v[10:11]
	s_delay_alu instid0(VALU_DEP_4) | instskip(SKIP_2) | instid1(VALU_DEP_3)
	v_dual_cndmask_b32 v2, v2, v54, s5 :: v_dual_cndmask_b32 v3, v3, v61, s7
	v_cmp_eq_u32_e64 s5, 4, v35
	v_cmp_eq_u32_e64 s4, 5, v35
	v_dual_cndmask_b32 v115, v115, v45, s9 :: v_dual_cndmask_b32 v2, v2, v52, s6
	v_cmp_eq_u32_e64 s6, 3, v35
	s_delay_alu instid0(VALU_DEP_3) | instskip(SKIP_1) | instid1(VALU_DEP_4)
	v_dual_cndmask_b32 v127, v120, v45, s5 :: v_dual_cndmask_b32 v55, v55, v45, s4
	v_cndmask_b32_e32 v30, v30, v44, vcc_lo
	v_cndmask_b32_e64 v2, v2, v50, s7
	v_cmp_eq_u32_e64 s7, 2, v35
	v_cndmask_b32_e64 v125, v121, v45, s6
	v_cndmask_b32_e64 v113, v113, v45, s8
	s_delay_alu instid0(VALU_DEP_4)
	v_fmac_f64_e32 v[66:67], v[2:3], v[10:11]
	v_lshl_add_u32 v2, v35, 2, v133
	v_cndmask_b32_e64 v111, v111, v45, s7
	ds_load_b32 v2, v2 offset:40
	v_dual_cndmask_b32 v29, v110, v47, vcc_lo :: v_dual_cndmask_b32 v27, v112, v47, s2
	v_dual_cndmask_b32 v28, v74, v46, vcc_lo :: v_dual_cndmask_b32 v26, v75, v46, s2
	v_dual_cndmask_b32 v25, v114, v47, s3 :: v_dual_cndmask_b32 v24, v76, v46, s3
	v_dual_cndmask_b32 v23, v124, v47, s4 :: v_dual_cndmask_b32 v22, v77, v46, s4
	v_cndmask_b32_e64 v21, v126, v47, s5
	v_cndmask_b32_e64 v20, v78, v46, s5
	v_dual_cndmask_b32 v19, v134, v47, s6 :: v_dual_cndmask_b32 v18, v79, v46, s6
	v_dual_cndmask_b32 v17, v135, v47, s7 :: v_dual_cndmask_b32 v16, v80, v46, s7
	;; [unrolled: 1-line block ×4, first 2 shown]
	v_cndmask_b32_e64 v126, v43, v44, s5
	s_wait_dscnt 0x0
	scratch_store_b32 off, v2, off offset:4
	v_dual_cndmask_b32 v124, v58, v44, s6 :: v_dual_cndmask_b32 v110, v60, v44, s7
	v_dual_cndmask_b32 v112, v62, v44, s8 :: v_dual_cndmask_b32 v123, v104, v65, s5
	v_dual_cndmask_b32 v114, v34, v44, s9 :: v_dual_cndmask_b32 v121, v107, v65, s6
	v_dual_cndmask_b32 v122, v68, v64, s5 :: v_dual_cndmask_b32 v120, v69, v64, s6
	v_dual_cndmask_b32 v105, v105, v65, s7 :: v_dual_cndmask_b32 v104, v70, v64, s7
	v_dual_cndmask_b32 v107, v106, v65, s8 :: v_dual_cndmask_b32 v106, v71, v64, s8
	v_dual_cndmask_b32 v109, v109, v65, s9 :: v_dual_cndmask_b32 v108, v108, v64, s9
	v_dual_cndmask_b32 v131, v131, v67, s5 :: v_dual_cndmask_b32 v130, v130, v66, s5
	v_dual_cndmask_b32 v129, v129, v67, s6 :: v_dual_cndmask_b32 v128, v128, v66, s6
	s_wait_xcnt 0x0
	v_dual_cndmask_b32 v3, v143, v67, s7 :: v_dual_cndmask_b32 v2, v141, v66, s7
	v_dual_cndmask_b32 v117, v117, v67, s8 :: v_dual_cndmask_b32 v116, v116, v66, s8
	v_dual_cndmask_b32 v119, v119, v67, s9 :: v_dual_cndmask_b32 v118, v118, v66, s9
	v_cndmask_b32_e64 v62, v37, v44, s2
	v_dual_cndmask_b32 v60, v41, v44, s3 :: v_dual_cndmask_b32 v58, v42, v44, s4
	v_dual_cndmask_b32 v57, v57, v65, vcc_lo :: v_dual_cndmask_b32 v59, v59, v65, s2
	v_dual_cndmask_b32 v44, v137, v64, vcc_lo :: v_dual_cndmask_b32 v46, v138, v64, s2
	v_dual_cndmask_b32 v49, v49, v65, s3 :: v_dual_cndmask_b32 v48, v48, v64, s3
	v_dual_cndmask_b32 v45, v140, v65, s4 :: v_dual_cndmask_b32 v10, v139, v64, s4
	v_dual_cndmask_b32 v61, v61, v67 :: v_dual_cndmask_b32 v50, v50, v66
	v_dual_cndmask_b32 v63, v63, v67, s2 :: v_dual_cndmask_b32 v52, v52, v66, s2
	v_dual_cndmask_b32 v47, v32, v67, s3 :: v_dual_cndmask_b32 v54, v54, v66, s3
	;; [unrolled: 1-line block ×3, first 2 shown]
.LBB0_55:
	s_or_b32 exec_lo, exec_lo, s33
	scratch_store_b32 off, v33, off
	s_wait_xcnt 0x0
	s_and_saveexec_b32 s3, s0
	s_cbranch_execz .LBB0_64
; %bb.56:
	s_mov_b32 s4, 0
	s_branch .LBB0_58
.LBB0_57:                               ;   in Loop: Header=BB0_58 Depth=1
	s_wait_xcnt 0x0
	s_or_b32 exec_lo, exec_lo, s5
	s_wait_dscnt 0x0
	v_cmp_gt_i32_e32 vcc_lo, 0, v32
	v_mov_b32_e32 v38, v32
	s_or_b32 s4, vcc_lo, s4
	s_delay_alu instid0(SALU_CYCLE_1)
	s_and_not1_b32 exec_lo, exec_lo, s4
	s_cbranch_execz .LBB0_64
.LBB0_58:                               ; =>This Inner Loop Header: Depth=1
	s_delay_alu instid0(VALU_DEP_1) | instskip(SKIP_3) | instid1(VALU_DEP_2)
	v_cmp_eq_u32_e32 vcc_lo, 1, v38
	v_cmp_eq_u32_e64 s2, 2, v38
	v_dual_cndmask_b32 v32, v109, v107 :: v_dual_cndmask_b32 v33, v108, v106
	v_cmp_eq_u32_e32 vcc_lo, 3, v38
	v_dual_cndmask_b32 v32, v32, v105, s2 :: v_dual_cndmask_b32 v33, v33, v104, s2
	s_mov_b32 s2, 0
	s_delay_alu instid0(VALU_DEP_1) | instskip(SKIP_1) | instid1(VALU_DEP_2)
	v_dual_cndmask_b32 v32, v32, v121 :: v_dual_cndmask_b32 v33, v33, v120
	v_cmp_eq_u32_e32 vcc_lo, 4, v38
	v_dual_cndmask_b32 v32, v32, v123 :: v_dual_cndmask_b32 v33, v33, v122
	v_cmp_eq_u32_e32 vcc_lo, 5, v38
	s_delay_alu instid0(VALU_DEP_2) | instskip(SKIP_1) | instid1(VALU_DEP_2)
	v_dual_cndmask_b32 v32, v32, v45 :: v_dual_cndmask_b32 v33, v33, v10
	v_cmp_eq_u32_e32 vcc_lo, 6, v38
	v_dual_cndmask_b32 v32, v32, v49 :: v_dual_cndmask_b32 v33, v33, v48
	v_cmp_eq_u32_e32 vcc_lo, 7, v38
	s_delay_alu instid0(VALU_DEP_2) | instskip(SKIP_1) | instid1(VALU_DEP_2)
	v_dual_cndmask_b32 v32, v32, v59, vcc_lo :: v_dual_cndmask_b32 v34, v33, v46, vcc_lo
	v_cmp_eq_u32_e32 vcc_lo, 8, v38
	v_dual_cndmask_b32 v33, v32, v57 :: v_dual_cndmask_b32 v32, v34, v44
	s_delay_alu instid0(VALU_DEP_1) | instskip(SKIP_3) | instid1(SALU_CYCLE_1)
	v_cmp_ngt_f64_e32 vcc_lo, 0, v[32:33]
	v_lshl_add_u32 v33, v38, 2, v133
	ds_load_b32 v32, v33 offset:40
	s_and_saveexec_b32 s5, vcc_lo
	s_xor_b32 s5, exec_lo, s5
	s_cbranch_execnz .LBB0_61
; %bb.59:                               ;   in Loop: Header=BB0_58 Depth=1
	s_or_saveexec_b32 s5, s5
	v_mov_b32_e32 v34, 0
	s_xor_b32 exec_lo, exec_lo, s5
	s_cbranch_execnz .LBB0_62
.LBB0_60:                               ;   in Loop: Header=BB0_58 Depth=1
	s_or_b32 exec_lo, exec_lo, s5
	s_and_saveexec_b32 s5, s2
	s_cbranch_execz .LBB0_57
	s_branch .LBB0_63
.LBB0_61:                               ;   in Loop: Header=BB0_58 Depth=1
	scratch_load_b32 v33, off, off
	s_wait_loadcnt 0x0
	v_cmp_eq_u32_e32 vcc_lo, -1, v33
                                        ; implicit-def: $vgpr33
	s_and_b32 s2, vcc_lo, exec_lo
	s_wait_xcnt 0x0
	s_or_saveexec_b32 s5, s5
	v_mov_b32_e32 v34, 0
	s_xor_b32 exec_lo, exec_lo, s5
	s_cbranch_execz .LBB0_60
.LBB0_62:                               ;   in Loop: Header=BB0_58 Depth=1
	scratch_load_b32 v37, off, off offset:4
	v_mov_b32_e32 v34, 4
	s_or_b32 s2, s2, exec_lo
	s_wait_loadcnt 0x0
	ds_store_b32 v33, v37 offset:40
	s_wait_xcnt 0x0
	s_or_b32 exec_lo, exec_lo, s5
	s_and_saveexec_b32 s5, s2
	s_cbranch_execz .LBB0_57
.LBB0_63:                               ;   in Loop: Header=BB0_58 Depth=1
	scratch_store_b32 v34, v38, off
	s_branch .LBB0_57
.LBB0_64:
	s_or_b32 exec_lo, exec_lo, s3
	s_and_saveexec_b32 s2, s1
	s_cbranch_execz .LBB0_66
; %bb.65:
	v_cmp_gt_f64_e32 vcc_lo, 0, v[0:1]
	v_lshl_add_u32 v0, v39, 2, v133
	v_lshl_add_u32 v1, v36, 2, v133
	;; [unrolled: 1-line block ×3, first 2 shown]
	s_and_b32 s0, s0, vcc_lo
	s_delay_alu instid0(SALU_CYCLE_1) | instskip(NEXT) | instid1(SALU_CYCLE_1)
	s_or_b32 s0, s31, s0
	v_cndmask_b32_e64 v32, v40, -1, s0
	ds_store_b32 v0, v36 offset:40
	ds_store_b32 v1, v35 offset:40
	;; [unrolled: 1-line block ×3, first 2 shown]
.LBB0_66:
	s_or_b32 exec_lo, exec_lo, s2
	ds_load_2addr_b64 v[32:35], v133 offset0:5 offset1:6
	ds_load_2addr_b64 v[36:39], v133 offset0:7 offset1:8
	s_mov_b32 s31, 0
	s_wait_dscnt 0x1
	ds_store_b128 v133, v[32:35]
	s_wait_dscnt 0x1
	ds_store_b128 v133, v[36:39] offset:16
	s_clause 0x1
	scratch_load_b32 v134, off, off
	scratch_load_b32 v135, off, off offset:4
	ds_load_b32 v0, v133 offset:72
	v_mov_b64_e32 v[34:35], -1
	v_dual_mov_b32 v38, -1 :: v_dual_mov_b32 v39, -1
	s_wait_dscnt 0x0
	ds_store_b32 v133, v0 offset:32
	s_wait_loadcnt 0x1
	v_cmp_eq_u32_e32 vcc_lo, 1, v134
	v_cmp_eq_u32_e64 s0, 2, v134
	scratch_store_b32 off, v134, off offset:8
	s_wait_loadcnt 0x0
	scratch_store_b32 off, v135, off offset:12
	v_dual_cndmask_b32 v0, v119, v117 :: v_dual_cndmask_b32 v1, v118, v116
	v_cmp_eq_u32_e32 vcc_lo, 3, v134
	s_delay_alu instid0(VALU_DEP_2) | instskip(SKIP_1) | instid1(VALU_DEP_2)
	v_dual_cndmask_b32 v0, v0, v3, s0 :: v_dual_cndmask_b32 v1, v1, v2, s0
	v_cmp_lt_i32_e64 s0, -1, v134
	v_dual_cndmask_b32 v0, v0, v129 :: v_dual_cndmask_b32 v1, v1, v128
	v_cmp_eq_u32_e32 vcc_lo, 4, v134
	s_delay_alu instid0(VALU_DEP_2) | instskip(SKIP_1) | instid1(VALU_DEP_2)
	v_dual_cndmask_b32 v0, v0, v131 :: v_dual_cndmask_b32 v1, v1, v130
	v_cmp_eq_u32_e32 vcc_lo, 5, v134
	v_dual_cndmask_b32 v0, v0, v11 :: v_dual_cndmask_b32 v1, v1, v56
	v_cmp_eq_u32_e32 vcc_lo, 6, v134
	s_delay_alu instid0(VALU_DEP_2) | instskip(SKIP_1) | instid1(VALU_DEP_2)
	v_dual_cndmask_b32 v0, v0, v47 :: v_dual_cndmask_b32 v1, v1, v54
	v_cmp_eq_u32_e32 vcc_lo, 7, v134
	v_dual_cndmask_b32 v0, v0, v63, vcc_lo :: v_dual_cndmask_b32 v32, v1, v52, vcc_lo
	v_cmp_eq_u32_e32 vcc_lo, 8, v134
	s_delay_alu instid0(VALU_DEP_2) | instskip(NEXT) | instid1(VALU_DEP_3)
	v_cndmask_b32_e32 v1, v0, v61, vcc_lo
	v_cndmask_b32_e32 v0, v32, v50, vcc_lo
	v_mov_b64_e32 v[32:33], -1
	s_wait_xcnt 0x0
	s_and_saveexec_b32 s5, s0
	s_cbranch_execz .LBB0_70
; %bb.67:
	v_mov_b64_e32 v[36:37], v[0:1]
	v_dual_mov_b32 v38, -1 :: v_dual_mov_b32 v33, v134
	v_dual_mov_b32 v32, -1 :: v_dual_mov_b32 v34, -1
	v_mov_b32_e32 v39, -1
	s_mov_b32 s6, 0
                                        ; implicit-def: $sgpr7
.LBB0_68:                               ; =>This Inner Loop Header: Depth=1
	s_delay_alu instid0(VALU_DEP_3)
	v_lshl_add_u32 v35, v33, 2, v133
	v_cmp_le_f64_e32 vcc_lo, 0, v[36:37]
	v_cmp_gt_f64_e64 s1, 0, v[36:37]
	ds_load_b32 v35, v35 offset:40
	s_wait_dscnt 0x0
	v_cmp_gt_i32_e64 s2, 0, v35
	s_delay_alu instid0(VALU_DEP_1) | instskip(NEXT) | instid1(VALU_DEP_1)
	v_cndmask_b32_e64 v40, v35, v134, s2
	v_cmp_eq_u32_e64 s3, 1, v40
	v_cmp_eq_u32_e64 s4, 2, v40
	s_delay_alu instid0(VALU_DEP_2) | instskip(NEXT) | instid1(VALU_DEP_1)
	v_dual_cndmask_b32 v36, v119, v117, s3 :: v_dual_cndmask_b32 v37, v118, v116, s3
	v_cndmask_b32_e64 v36, v36, v3, s4
	v_cmp_eq_u32_e64 s3, 3, v40
	s_delay_alu instid0(VALU_DEP_1) | instskip(NEXT) | instid1(VALU_DEP_1)
	v_dual_cndmask_b32 v37, v37, v2, s4 :: v_dual_cndmask_b32 v36, v36, v129, s3
	v_cndmask_b32_e64 v37, v37, v128, s3
	v_cmp_eq_u32_e64 s3, 4, v40
	s_delay_alu instid0(VALU_DEP_1) | instskip(SKIP_1) | instid1(VALU_DEP_1)
	v_dual_cndmask_b32 v36, v36, v131, s3 :: v_dual_cndmask_b32 v37, v37, v130, s3
	v_cmp_eq_u32_e64 s3, 5, v40
	v_dual_cndmask_b32 v36, v36, v11, s3 :: v_dual_cndmask_b32 v37, v37, v56, s3
	v_cmp_eq_u32_e64 s3, 6, v40
	s_delay_alu instid0(VALU_DEP_1) | instskip(SKIP_1) | instid1(VALU_DEP_1)
	v_dual_cndmask_b32 v36, v36, v47, s3 :: v_dual_cndmask_b32 v37, v37, v54, s3
	v_cmp_eq_u32_e64 s3, 7, v40
	v_dual_cndmask_b32 v36, v36, v63, s3 :: v_dual_cndmask_b32 v41, v37, v52, s3
	v_cmp_eq_u32_e64 s3, 8, v40
	s_delay_alu instid0(VALU_DEP_1) | instskip(NEXT) | instid1(VALU_DEP_1)
	v_dual_cndmask_b32 v37, v36, v61, s3 :: v_dual_cndmask_b32 v36, v41, v50, s3
	v_cmp_gt_f64_e64 s3, 0, v[36:37]
	s_and_b32 vcc_lo, vcc_lo, s3
	v_cndmask_b32_e32 v34, v34, v40, vcc_lo
	v_cmp_le_f64_e64 s4, 0, v[36:37]
	v_cndmask_b32_e32 v38, v38, v33, vcc_lo
	s_and_b32 s3, s1, s4
	s_or_b32 s6, s2, s6
	v_dual_cndmask_b32 v39, v39, v40, s3 :: v_dual_cndmask_b32 v32, v32, v33, s3
	v_mov_b32_e32 v33, v35
	s_and_not1_b32 s2, s7, exec_lo
	s_and_b32 s1, s1, exec_lo
	s_delay_alu instid0(SALU_CYCLE_1)
	s_or_b32 s7, s2, s1
	s_and_not1_b32 exec_lo, exec_lo, s6
	s_cbranch_execnz .LBB0_68
; %bb.69:
	s_or_b32 exec_lo, exec_lo, s6
	s_delay_alu instid0(SALU_CYCLE_1)
	s_and_b32 s31, s7, exec_lo
.LBB0_70:
	s_or_b32 exec_lo, exec_lo, s5
	v_dual_mov_b32 v33, -1 :: v_dual_mov_b32 v41, -1
	v_cmp_lt_i32_e64 s1, -1, v38
	v_lshl_add_u32 v136, v135, 2, v133
	v_mov_b32_e32 v35, -1
	s_and_saveexec_b32 s33, s1
	s_cbranch_execz .LBB0_72
; %bb.71:
	v_cmp_eq_u32_e64 s2, 1, v34
	v_cmp_eq_u32_e64 s3, 2, v34
	;; [unrolled: 1-line block ×5, first 2 shown]
	v_cndmask_b32_e64 v35, v119, v117, s2
	v_cmp_eq_u32_e64 s7, 6, v34
	v_cmp_eq_u32_e64 s9, 7, v34
	v_cmp_eq_u32_e64 s10, 8, v34
	s_delay_alu instid0(VALU_DEP_4) | instskip(SKIP_3) | instid1(VALU_DEP_4)
	v_dual_cndmask_b32 v34, v118, v116, s2 :: v_dual_cndmask_b32 v35, v35, v3, s3
	v_cmp_eq_u32_e64 s11, 1, v38
	v_cmp_eq_u32_e64 s12, 2, v38
	v_cmp_eq_u32_e64 s13, 3, v38
	v_dual_cndmask_b32 v34, v34, v2, s3 :: v_dual_cndmask_b32 v35, v35, v129, s4
	v_cmp_eq_u32_e64 s14, 4, v38
	v_cmp_eq_u32_e64 s15, 5, v38
	v_cmp_eq_u32_e64 s16, 6, v38
	s_delay_alu instid0(VALU_DEP_4) | instskip(SKIP_3) | instid1(VALU_DEP_4)
	v_dual_cndmask_b32 v34, v34, v128, s4 :: v_dual_cndmask_b32 v35, v35, v131, s5
	v_cmp_eq_u32_e64 s17, 7, v38
	v_cmp_eq_u32_e64 s18, 8, v38
	v_cmp_eq_u32_e64 s8, 5, v135
	v_dual_cndmask_b32 v34, v34, v130, s5 :: v_dual_cndmask_b32 v35, v35, v11, s6
	;; [unrolled: 9-line block ×3, first 2 shown]
	v_cmp_eq_u32_e64 s23, 4, v135
	s_delay_alu instid0(VALU_DEP_2) | instskip(SKIP_1) | instid1(VALU_DEP_2)
	v_dual_cndmask_b32 v34, v34, v52, s9 :: v_dual_cndmask_b32 v43, v35, v61, s10
	v_cndmask_b32_e64 v35, v118, v116, s11
	v_dual_cndmask_b32 v42, v34, v50, s10 :: v_dual_cndmask_b32 v34, v119, v117, s11
	s_delay_alu instid0(VALU_DEP_1) | instskip(NEXT) | instid1(VALU_DEP_1)
	v_dual_cndmask_b32 v35, v35, v2, s12 :: v_dual_cndmask_b32 v34, v34, v3, s12
	v_dual_cndmask_b32 v35, v35, v128, s13 :: v_dual_cndmask_b32 v34, v34, v129, s13
	s_delay_alu instid0(VALU_DEP_1) | instskip(NEXT) | instid1(VALU_DEP_1)
	v_dual_cndmask_b32 v35, v35, v130, s14 :: v_dual_cndmask_b32 v34, v34, v131, s14
	;; [unrolled: 3-line block ×3, first 2 shown]
	v_dual_cndmask_b32 v35, v35, v52, s17 :: v_dual_cndmask_b32 v34, v34, v63, s17
	s_delay_alu instid0(VALU_DEP_1) | instskip(SKIP_1) | instid1(VALU_DEP_2)
	v_dual_cndmask_b32 v64, v35, v50, s18 :: v_dual_cndmask_b32 v65, v34, v61, s18
	v_add_f64_e64 v[34:35], -v[42:43], 0
	v_add_f64_e64 v[36:37], v[64:65], -v[42:43]
	s_delay_alu instid0(VALU_DEP_1) | instskip(NEXT) | instid1(VALU_DEP_1)
	v_div_scale_f64 v[40:41], null, v[36:37], v[36:37], v[34:35]
	v_rcp_f64_e32 v[66:67], v[40:41]
	v_nop
	s_delay_alu instid0(TRANS32_DEP_1) | instskip(NEXT) | instid1(VALU_DEP_1)
	v_fma_f64 v[68:69], -v[40:41], v[66:67], 1.0
	v_fmac_f64_e32 v[66:67], v[66:67], v[68:69]
	s_delay_alu instid0(VALU_DEP_1) | instskip(NEXT) | instid1(VALU_DEP_1)
	v_fma_f64 v[68:69], -v[40:41], v[66:67], 1.0
	v_fmac_f64_e32 v[66:67], v[66:67], v[68:69]
	v_div_scale_f64 v[68:69], vcc_lo, v[34:35], v[36:37], v[34:35]
	s_delay_alu instid0(VALU_DEP_1) | instskip(NEXT) | instid1(VALU_DEP_1)
	v_mul_f64_e32 v[70:71], v[68:69], v[66:67]
	v_fma_f64 v[40:41], -v[40:41], v[70:71], v[68:69]
	s_delay_alu instid0(VALU_DEP_1) | instskip(SKIP_1) | instid1(VALU_DEP_2)
	v_div_fmas_f64 v[40:41], v[40:41], v[66:67], v[70:71]
	v_cmp_eq_u32_e32 vcc_lo, 6, v135
	v_div_fixup_f64 v[66:67], v[40:41], v[36:37], v[34:35]
	v_dual_cndmask_b32 v34, v115, v113, s11 :: v_dual_cndmask_b32 v35, v114, v112, s11
	v_cndmask_b32_e64 v41, v13, v15, s2
	s_delay_alu instid0(VALU_DEP_2) | instskip(NEXT) | instid1(VALU_DEP_2)
	v_dual_cndmask_b32 v34, v34, v111, s12 :: v_dual_cndmask_b32 v35, v35, v110, s12
	v_cndmask_b32_e64 v41, v41, v17, s3
	s_delay_alu instid0(VALU_DEP_2) | instskip(NEXT) | instid1(VALU_DEP_1)
	v_dual_cndmask_b32 v34, v34, v125, s13 :: v_dual_cndmask_b32 v35, v35, v124, s13
	v_dual_cndmask_b32 v34, v34, v127, s14 :: v_dual_cndmask_b32 v35, v35, v126, s14
	s_delay_alu instid0(VALU_DEP_1) | instskip(NEXT) | instid1(VALU_DEP_1)
	v_dual_cndmask_b32 v34, v34, v55, s15 :: v_dual_cndmask_b32 v35, v35, v58, s15
	v_dual_cndmask_b32 v34, v34, v53, s16 :: v_dual_cndmask_b32 v35, v35, v60, s16
	s_delay_alu instid0(VALU_DEP_1) | instskip(SKIP_1) | instid1(VALU_DEP_2)
	v_dual_cndmask_b32 v34, v34, v51, s17 :: v_dual_cndmask_b32 v35, v35, v62, s17
	v_add_f64_e64 v[68:69], -v[66:67], 1.0
	v_dual_cndmask_b32 v37, v34, v31, s18 :: v_dual_cndmask_b32 v34, v115, v113, s2
	s_delay_alu instid0(VALU_DEP_3) | instskip(NEXT) | instid1(VALU_DEP_1)
	v_dual_cndmask_b32 v36, v35, v30, s18 :: v_dual_cndmask_b32 v35, v114, v112, s2
	v_dual_cndmask_b32 v34, v34, v111, s3 :: v_dual_cndmask_b32 v35, v35, v110, s3
	s_delay_alu instid0(VALU_DEP_1) | instskip(NEXT) | instid1(VALU_DEP_1)
	v_dual_cndmask_b32 v34, v34, v125, s4 :: v_dual_cndmask_b32 v35, v35, v124, s4
	v_dual_cndmask_b32 v34, v34, v127, s5 :: v_dual_cndmask_b32 v35, v35, v126, s5
	s_delay_alu instid0(VALU_DEP_1) | instskip(NEXT) | instid1(VALU_DEP_1)
	;; [unrolled: 3-line block ×4, first 2 shown]
	v_mul_f64_e32 v[34:35], v[34:35], v[68:69]
	v_fmac_f64_e32 v[34:35], v[36:37], v[66:67]
	s_delay_alu instid0(VALU_DEP_1) | instskip(SKIP_3) | instid1(VALU_DEP_3)
	v_cndmask_b32_e64 v40, v58, v34, s8
	v_cndmask_b32_e64 v58, v12, v14, s2
	;; [unrolled: 1-line block ×3, first 2 shown]
	v_dual_cndmask_b32 v30, v30, v34, s24 :: v_dual_cndmask_b32 v37, v60, v34, vcc_lo
	v_dual_cndmask_b32 v55, v55, v35, s8 :: v_dual_cndmask_b32 v58, v58, v16, s3
	v_cndmask_b32_e64 v41, v41, v19, s4
	v_dual_cndmask_b32 v31, v31, v35, s24 :: v_dual_cndmask_b32 v53, v53, v35, vcc_lo
	v_dual_cndmask_b32 v113, v113, v35, s21 :: v_dual_cndmask_b32 v115, v115, v35, s22
	s_delay_alu instid0(VALU_DEP_3) | instskip(SKIP_1) | instid1(VALU_DEP_2)
	v_dual_cndmask_b32 v58, v58, v18, s4 :: v_dual_cndmask_b32 v41, v41, v21, s5
	v_dual_cndmask_b32 v62, v112, v34, s21 :: v_dual_cndmask_b32 v111, v111, v35, s20
	;; [unrolled: 1-line block ×3, first 2 shown]
	s_delay_alu instid0(VALU_DEP_1) | instskip(NEXT) | instid1(VALU_DEP_1)
	v_dual_cndmask_b32 v58, v58, v22, s6 :: v_dual_cndmask_b32 v41, v41, v25, s7
	v_dual_cndmask_b32 v58, v58, v24, s7 :: v_dual_cndmask_b32 v41, v41, v27, s9
	s_delay_alu instid0(VALU_DEP_1) | instskip(NEXT) | instid1(VALU_DEP_1)
	v_dual_cndmask_b32 v58, v58, v26, s9 :: v_dual_cndmask_b32 v71, v41, v29, s10
	v_dual_cndmask_b32 v41, v13, v15, s11 :: v_dual_cndmask_b32 v70, v58, v28, s10
	s_delay_alu instid0(VALU_DEP_1) | instskip(NEXT) | instid1(VALU_DEP_2)
	v_dual_cndmask_b32 v58, v12, v14, s11 :: v_dual_cndmask_b32 v41, v41, v17, s12
	v_mul_f64_e32 v[70:71], v[70:71], v[68:69]
	s_delay_alu instid0(VALU_DEP_2) | instskip(NEXT) | instid1(VALU_DEP_1)
	v_dual_cndmask_b32 v58, v58, v16, s12 :: v_dual_cndmask_b32 v41, v41, v19, s13
	v_dual_cndmask_b32 v58, v58, v18, s13 :: v_dual_cndmask_b32 v41, v41, v21, s14
	s_delay_alu instid0(VALU_DEP_1) | instskip(NEXT) | instid1(VALU_DEP_1)
	v_dual_cndmask_b32 v58, v58, v20, s14 :: v_dual_cndmask_b32 v41, v41, v23, s15
	v_dual_cndmask_b32 v58, v58, v22, s15 :: v_dual_cndmask_b32 v41, v41, v25, s16
	s_delay_alu instid0(VALU_DEP_1) | instskip(NEXT) | instid1(VALU_DEP_1)
	v_dual_cndmask_b32 v58, v58, v24, s16 :: v_dual_cndmask_b32 v41, v41, v27, s17
	v_dual_cndmask_b32 v58, v58, v26, s17 :: v_dual_cndmask_b32 v73, v41, v29, s18
	v_cndmask_b32_e64 v41, v126, v34, s23
	s_delay_alu instid0(VALU_DEP_2) | instskip(NEXT) | instid1(VALU_DEP_1)
	v_dual_cndmask_b32 v72, v58, v28, s18 :: v_dual_cndmask_b32 v58, v124, v34, s19
	v_fmac_f64_e32 v[70:71], v[72:73], v[66:67]
	v_cndmask_b32_e64 v60, v110, v34, s20
	v_dual_cndmask_b32 v34, v114, v34, s22 :: v_dual_cndmask_b32 v114, v125, v35, s19
	s_delay_alu instid0(VALU_DEP_3)
	v_dual_cndmask_b32 v28, v28, v70, s24 :: v_dual_cndmask_b32 v26, v26, v70, s25
	v_dual_cndmask_b32 v72, v24, v70, vcc_lo :: v_dual_cndmask_b32 v73, v22, v70, s8
	v_dual_cndmask_b32 v74, v20, v70, s23 :: v_dual_cndmask_b32 v75, v18, v70, s19
	v_dual_cndmask_b32 v76, v16, v70, s20 :: v_dual_cndmask_b32 v77, v14, v70, s21
	v_dual_cndmask_b32 v70, v12, v70, s22 :: v_dual_cndmask_b32 v78, v25, v71, vcc_lo
	v_dual_cndmask_b32 v29, v29, v71, s24 :: v_dual_cndmask_b32 v27, v27, v71, s25
	v_dual_cndmask_b32 v79, v23, v71, s8 :: v_dual_cndmask_b32 v80, v21, v71, s23
	;; [unrolled: 1-line block ×5, first 2 shown]
	v_cndmask_b32_e64 v51, v51, v35, s25
	v_cmp_eq_u32_e64 s2, 3, v39
	s_delay_alu instid0(VALU_DEP_3) | instskip(SKIP_1) | instid1(VALU_DEP_2)
	v_dual_cndmask_b32 v12, v12, v105, s3 :: v_dual_cndmask_b32 v13, v13, v104, s3
	v_cmp_eq_u32_e64 s3, 4, v39
	v_dual_cndmask_b32 v12, v12, v121, s4 :: v_dual_cndmask_b32 v13, v13, v120, s4
	v_cmp_eq_u32_e64 s4, 5, v39
	s_delay_alu instid0(VALU_DEP_2) | instskip(SKIP_1) | instid1(VALU_DEP_2)
	v_dual_cndmask_b32 v12, v12, v123, s5 :: v_dual_cndmask_b32 v13, v13, v122, s5
	v_cmp_eq_u32_e64 s5, 6, v39
	v_dual_cndmask_b32 v12, v12, v45, s6 :: v_dual_cndmask_b32 v13, v13, v10, s6
	v_cmp_eq_u32_e64 s6, 7, v39
	s_delay_alu instid0(VALU_DEP_2) | instskip(SKIP_1) | instid1(VALU_DEP_2)
	v_dual_cndmask_b32 v12, v12, v49, s7 :: v_dual_cndmask_b32 v13, v13, v48, s7
	v_cmp_eq_u32_e64 s7, 8, v39
	v_dual_cndmask_b32 v12, v12, v59, s9 :: v_dual_cndmask_b32 v14, v13, v46, s9
	v_cmp_eq_u32_e64 s9, 1, v32
	s_delay_alu instid0(VALU_DEP_2) | instskip(SKIP_2) | instid1(VALU_DEP_2)
	v_dual_cndmask_b32 v13, v12, v57, s10 :: v_dual_cndmask_b32 v12, v14, v44, s10
	v_cndmask_b32_e64 v14, v109, v107, s11
	v_cmp_eq_u32_e64 s10, 4, v32
	v_dual_cndmask_b32 v14, v14, v105, s12 :: v_dual_cndmask_b32 v15, v108, v106, s11
	s_delay_alu instid0(VALU_DEP_4) | instskip(SKIP_1) | instid1(VALU_DEP_3)
	v_mul_f64_e32 v[12:13], v[12:13], v[68:69]
	v_cmp_eq_u32_e64 s11, 5, v32
	v_dual_cndmask_b32 v14, v14, v121, s13 :: v_dual_cndmask_b32 v15, v15, v104, s12
	v_cmp_eq_u32_e64 s12, 6, v32
	s_delay_alu instid0(VALU_DEP_2) | instskip(SKIP_1) | instid1(VALU_DEP_2)
	v_dual_cndmask_b32 v14, v14, v123, s14 :: v_dual_cndmask_b32 v15, v15, v120, s13
	v_cmp_eq_u32_e64 s13, 7, v32
	v_dual_cndmask_b32 v14, v14, v45, s15 :: v_dual_cndmask_b32 v15, v15, v122, s14
	v_cmp_eq_u32_e64 s14, 8, v32
	s_delay_alu instid0(VALU_DEP_2) | instskip(SKIP_1) | instid1(VALU_DEP_2)
	v_dual_cndmask_b32 v14, v14, v49, s16 :: v_dual_cndmask_b32 v15, v15, v10, s15
	;; [unrolled: 5-line block ×3, first 2 shown]
	v_cmp_eq_u32_e64 s17, 2, v39
	v_cndmask_b32_e64 v14, v16, v44, s18
	v_cmp_eq_u32_e64 s18, 1, v39
	s_delay_alu instid0(VALU_DEP_2) | instskip(SKIP_1) | instid1(VALU_DEP_2)
	v_fmac_f64_e32 v[12:13], v[14:15], v[66:67]
	v_mul_f64_e32 v[14:15], v[42:43], v[68:69]
	v_dual_cndmask_b32 v48, v48, v12, vcc_lo :: v_dual_cndmask_b32 v138, v10, v12, s8
	s_delay_alu instid0(VALU_DEP_2) | instskip(NEXT) | instid1(VALU_DEP_4)
	v_fmac_f64_e32 v[14:15], v[64:65], v[66:67]
	v_dual_cndmask_b32 v32, v49, v13, vcc_lo :: v_dual_cndmask_b32 v49, v127, v35, s23
	v_cndmask_b32_e64 v120, v120, v12, s19
	v_dual_cndmask_b32 v137, v44, v12, s24 :: v_dual_cndmask_b32 v46, v46, v12, s25
	v_dual_cndmask_b32 v57, v57, v13, s24 :: v_dual_cndmask_b32 v59, v59, v13, s25
	;; [unrolled: 1-line block ×6, first 2 shown]
	v_cndmask_b32_e64 v105, v105, v13, s20
	v_cndmask_b32_e64 v109, v109, v13, s22
	v_dual_cndmask_b32 v12, v115, v113, s18 :: v_dual_cndmask_b32 v13, v34, v62, s18
	s_delay_alu instid0(VALU_DEP_1)
	v_dual_cndmask_b32 v13, v13, v60, s17 :: v_dual_cndmask_b32 v116, v116, v14, s21
	v_dual_cndmask_b32 v118, v118, v14, s22 :: v_dual_cndmask_b32 v117, v117, v15, s21
	;; [unrolled: 1-line block ×5, first 2 shown]
	v_cndmask_b32_e64 v130, v131, v15, s23
	v_dual_cndmask_b32 v140, v3, v15, s20 :: v_dual_cndmask_b32 v3, v118, v116, s9
	v_dual_cndmask_b32 v2, v119, v117, s9 :: v_dual_cndmask_b32 v10, v119, v117, s18
	v_dual_cndmask_b32 v47, v47, v15, vcc_lo :: v_dual_cndmask_b32 v128, v128, v14, s19
	s_delay_alu instid0(VALU_DEP_3) | instskip(NEXT) | instid1(VALU_DEP_3)
	v_dual_cndmask_b32 v11, v118, v116, s18 :: v_dual_cndmask_b32 v3, v3, v139, s16
	v_dual_cndmask_b32 v2, v2, v140, s16 :: v_dual_cndmask_b32 v56, v56, v14, s8
	v_cndmask_b32_e64 v61, v61, v15, s24
	s_delay_alu instid0(VALU_DEP_3) | instskip(NEXT) | instid1(VALU_DEP_3)
	v_cndmask_b32_e64 v11, v11, v139, s17
	v_dual_cndmask_b32 v3, v3, v128, s15 :: v_dual_cndmask_b32 v2, v2, v129, s15
	v_dual_cndmask_b32 v10, v10, v140, s17 :: v_dual_cndmask_b32 v52, v52, v14, s25
	s_delay_alu instid0(VALU_DEP_3) | instskip(NEXT) | instid1(VALU_DEP_3)
	v_dual_cndmask_b32 v54, v54, v14, vcc_lo :: v_dual_cndmask_b32 v11, v11, v128, s2
	v_dual_cndmask_b32 v2, v2, v130, s10 :: v_dual_cndmask_b32 v3, v3, v69, s10
	s_delay_alu instid0(VALU_DEP_3) | instskip(NEXT) | instid1(VALU_DEP_3)
	v_cndmask_b32_e64 v10, v10, v129, s2
	v_dual_cndmask_b32 v50, v50, v14, s24 :: v_dual_cndmask_b32 v11, v11, v69, s3
	s_delay_alu instid0(VALU_DEP_2) | instskip(NEXT) | instid1(VALU_DEP_1)
	v_dual_cndmask_b32 v3, v3, v56, s11 :: v_dual_cndmask_b32 v10, v10, v130, s3
	v_dual_cndmask_b32 v2, v2, v68, s11 :: v_dual_cndmask_b32 v3, v3, v54, s12
	s_delay_alu instid0(VALU_DEP_1) | instskip(NEXT) | instid1(VALU_DEP_3)
	v_dual_cndmask_b32 v11, v11, v56, s4 :: v_dual_cndmask_b32 v2, v2, v47, s12
	v_cndmask_b32_e64 v10, v10, v68, s4
	s_delay_alu instid0(VALU_DEP_3) | instskip(NEXT) | instid1(VALU_DEP_3)
	v_cndmask_b32_e64 v3, v3, v52, s13
	v_dual_cndmask_b32 v11, v11, v54, s5 :: v_dual_cndmask_b32 v2, v2, v63, s13
	s_delay_alu instid0(VALU_DEP_1) | instskip(NEXT) | instid1(VALU_DEP_2)
	v_dual_cndmask_b32 v10, v10, v47, s5 :: v_dual_cndmask_b32 v15, v11, v52, s6
	v_cndmask_b32_e64 v11, v2, v61, s14
	s_delay_alu instid0(VALU_DEP_2) | instskip(NEXT) | instid1(VALU_DEP_1)
	v_dual_cndmask_b32 v14, v10, v63, s6 :: v_dual_cndmask_b32 v10, v3, v50, s14
	v_dual_cndmask_b32 v2, v15, v50, s7 :: v_dual_cndmask_b32 v3, v14, v61, s7
	s_delay_alu instid0(VALU_DEP_2) | instskip(NEXT) | instid1(VALU_DEP_2)
	v_add_f64_e64 v[14:15], -v[10:11], 0
	v_add_f64_e64 v[16:17], v[2:3], -v[10:11]
	s_delay_alu instid0(VALU_DEP_1) | instskip(SKIP_1) | instid1(VALU_DEP_2)
	v_div_scale_f64 v[18:19], null, v[16:17], v[16:17], v[14:15]
	v_div_scale_f64 v[24:25], vcc_lo, v[14:15], v[16:17], v[14:15]
	v_rcp_f64_e32 v[20:21], v[18:19]
	v_nop
	s_delay_alu instid0(TRANS32_DEP_1) | instskip(NEXT) | instid1(VALU_DEP_1)
	v_fma_f64 v[22:23], -v[18:19], v[20:21], 1.0
	v_fmac_f64_e32 v[20:21], v[20:21], v[22:23]
	s_delay_alu instid0(VALU_DEP_1) | instskip(NEXT) | instid1(VALU_DEP_1)
	v_fma_f64 v[22:23], -v[18:19], v[20:21], 1.0
	v_fmac_f64_e32 v[20:21], v[20:21], v[22:23]
	s_delay_alu instid0(VALU_DEP_1) | instskip(NEXT) | instid1(VALU_DEP_1)
	v_mul_f64_e32 v[22:23], v[24:25], v[20:21]
	v_fma_f64 v[18:19], -v[18:19], v[22:23], v[24:25]
	v_cndmask_b32_e64 v25, v108, v106, s9
	s_delay_alu instid0(VALU_DEP_1) | instskip(NEXT) | instid1(VALU_DEP_3)
	v_cndmask_b32_e64 v25, v25, v104, s16
	v_div_fmas_f64 v[18:19], v[18:19], v[20:21], v[22:23]
	v_dual_cndmask_b32 v20, v71, v112, s9 :: v_dual_cndmask_b32 v21, v70, v77, s9
	v_cndmask_b32_e64 v23, v108, v106, s18
	s_delay_alu instid0(VALU_DEP_2) | instskip(NEXT) | instid1(VALU_DEP_2)
	v_dual_cndmask_b32 v20, v20, v110, s16 :: v_dual_cndmask_b32 v21, v21, v76, s16
	v_dual_cndmask_b32 v42, v13, v58, s2 :: v_dual_cndmask_b32 v23, v23, v104, s17
	s_delay_alu instid0(VALU_DEP_2) | instskip(SKIP_4) | instid1(VALU_DEP_3)
	v_dual_cndmask_b32 v20, v20, v81, s15 :: v_dual_cndmask_b32 v21, v21, v75, s15
	v_div_fixup_f64 v[14:15], v[18:19], v[16:17], v[14:15]
	v_dual_cndmask_b32 v16, v115, v113, s9 :: v_dual_cndmask_b32 v17, v34, v62, s9
	v_dual_cndmask_b32 v18, v71, v112, s18 :: v_dual_cndmask_b32 v19, v70, v77, s18
	v_cndmask_b32_e64 v12, v12, v111, s17
	v_dual_cndmask_b32 v16, v16, v111, s16 :: v_dual_cndmask_b32 v17, v17, v60, s16
	s_delay_alu instid0(VALU_DEP_3) | instskip(NEXT) | instid1(VALU_DEP_3)
	v_dual_cndmask_b32 v18, v18, v110, s17 :: v_dual_cndmask_b32 v19, v19, v76, s17
	v_cndmask_b32_e64 v35, v12, v114, s2
	s_delay_alu instid0(VALU_DEP_3) | instskip(NEXT) | instid1(VALU_DEP_3)
	v_dual_cndmask_b32 v16, v16, v114, s15 :: v_dual_cndmask_b32 v22, v109, v107, s18
	v_dual_cndmask_b32 v43, v18, v81, s2 :: v_dual_cndmask_b32 v17, v17, v58, s15
	v_cndmask_b32_e64 v18, v20, v80, s10
	s_delay_alu instid0(VALU_DEP_3) | instskip(NEXT) | instid1(VALU_DEP_3)
	v_dual_cndmask_b32 v16, v16, v49, s10 :: v_dual_cndmask_b32 v20, v21, v74, s10
	v_dual_cndmask_b32 v21, v19, v75, s2 :: v_dual_cndmask_b32 v17, v17, v41, s10
	;; [unrolled: 1-line block ×3, first 2 shown]
	s_delay_alu instid0(VALU_DEP_3) | instskip(NEXT) | instid1(VALU_DEP_4)
	v_cndmask_b32_e64 v16, v16, v55, s11
	v_dual_cndmask_b32 v18, v18, v79, s11 :: v_dual_cndmask_b32 v19, v20, v73, s11
	s_delay_alu instid0(VALU_DEP_3) | instskip(NEXT) | instid1(VALU_DEP_4)
	v_dual_cndmask_b32 v17, v17, v40, s11 :: v_dual_cndmask_b32 v24, v24, v105, s16
	v_cndmask_b32_e64 v22, v22, v121, s2
	s_delay_alu instid0(VALU_DEP_3) | instskip(NEXT) | instid1(VALU_DEP_3)
	v_dual_cndmask_b32 v16, v16, v53, s12 :: v_dual_cndmask_b32 v18, v18, v78, s12
	v_dual_cndmask_b32 v17, v17, v37, s12 :: v_dual_cndmask_b32 v19, v19, v72, s12
	v_add_f64_e64 v[12:13], -v[14:15], 1.0
	s_delay_alu instid0(VALU_DEP_3) | instskip(NEXT) | instid1(VALU_DEP_3)
	v_cndmask_b32_e64 v16, v16, v51, s13
	v_dual_cndmask_b32 v20, v24, v121, s15 :: v_dual_cndmask_b32 v24, v17, v36, s13
	s_delay_alu instid0(VALU_DEP_4) | instskip(NEXT) | instid1(VALU_DEP_3)
	v_dual_cndmask_b32 v18, v18, v27, s13 :: v_dual_cndmask_b32 v44, v19, v26, s13
	v_dual_cndmask_b32 v25, v25, v120, s15 :: v_dual_cndmask_b32 v17, v16, v31, s14
	s_delay_alu instid0(VALU_DEP_2) | instskip(NEXT) | instid1(VALU_DEP_3)
	v_dual_cndmask_b32 v16, v24, v30, s14 :: v_dual_cndmask_b32 v19, v18, v29, s14
	v_dual_cndmask_b32 v18, v44, v28, s14 :: v_dual_cndmask_b32 v24, v35, v49, s3
	;; [unrolled: 1-line block ×3, first 2 shown]
	s_delay_alu instid0(VALU_DEP_2) | instskip(NEXT) | instid1(VALU_DEP_3)
	v_dual_mul_f64 v[44:45], v[18:19], v[12:13] :: v_dual_cndmask_b32 v18, v25, v122, s10
	v_cndmask_b32_e64 v19, v24, v55, s4
	v_mul_f64_e32 v[42:43], v[16:17], v[12:13]
	v_dual_cndmask_b32 v16, v21, v74, s3 :: v_dual_cndmask_b32 v17, v20, v123, s10
	v_dual_cndmask_b32 v20, v35, v40, s4 :: v_dual_cndmask_b32 v21, v64, v79, s4
	s_delay_alu instid0(VALU_DEP_4) | instskip(NEXT) | instid1(VALU_DEP_3)
	v_dual_cndmask_b32 v18, v18, v138, s11 :: v_dual_cndmask_b32 v19, v19, v53, s5
	v_cndmask_b32_e64 v17, v17, v141, s11
	s_delay_alu instid0(VALU_DEP_4) | instskip(NEXT) | instid1(VALU_DEP_4)
	v_cndmask_b32_e64 v16, v16, v73, s4
	v_dual_cndmask_b32 v20, v20, v37, s5 :: v_dual_cndmask_b32 v21, v21, v78, s5
	s_delay_alu instid0(VALU_DEP_4) | instskip(NEXT) | instid1(VALU_DEP_4)
	v_cndmask_b32_e64 v18, v18, v48, s12
	v_cndmask_b32_e64 v17, v17, v32, s12
	s_delay_alu instid0(VALU_DEP_4) | instskip(NEXT) | instid1(VALU_DEP_4)
	v_dual_cndmask_b32 v16, v16, v72, s5 :: v_dual_cndmask_b32 v19, v19, v51, s6
	v_dual_cndmask_b32 v20, v20, v36, s6 :: v_dual_cndmask_b32 v21, v21, v27, s6
	s_delay_alu instid0(VALU_DEP_3) | instskip(NEXT) | instid1(VALU_DEP_3)
	v_dual_cndmask_b32 v17, v17, v59, s13 :: v_dual_cndmask_b32 v18, v18, v46, s13
	v_dual_cndmask_b32 v24, v16, v26, s6 :: v_dual_cndmask_b32 v19, v19, v31, s7
	s_delay_alu instid0(VALU_DEP_3) | instskip(NEXT) | instid1(VALU_DEP_3)
	v_cndmask_b32_e64 v21, v21, v29, s7
	v_cndmask_b32_e64 v17, v17, v57, s14
	s_delay_alu instid0(VALU_DEP_4) | instskip(NEXT) | instid1(VALU_DEP_4)
	v_dual_cndmask_b32 v16, v18, v137, s14 :: v_dual_cndmask_b32 v18, v20, v30, s7
	v_cndmask_b32_e64 v20, v24, v28, s7
	ds_load_b32 v35, v136 offset:40
	v_fmac_f64_e32 v[42:43], v[18:19], v[14:15]
	v_mul_f64_e32 v[66:67], v[10:11], v[12:13]
	v_cndmask_b32_e64 v11, v22, v123, s3
	v_fmac_f64_e32 v[44:45], v[20:21], v[14:15]
	s_wait_dscnt 0x0
	v_cmp_eq_u32_e32 vcc_lo, 8, v35
	v_cndmask_b32_e64 v10, v23, v120, s2
	v_cmp_eq_u32_e64 s2, 7, v35
	v_cmp_eq_u32_e64 s8, 1, v35
	;; [unrolled: 1-line block ×3, first 2 shown]
	v_cndmask_b32_e32 v31, v31, v43, vcc_lo
	s_delay_alu instid0(VALU_DEP_3)
	v_dual_cndmask_b32 v51, v51, v43, s2 :: v_dual_cndmask_b32 v113, v113, v43, s8
	v_cndmask_b32_e32 v29, v29, v45, vcc_lo
	v_dual_mul_f64 v[64:65], v[16:17], v[12:13] :: v_dual_cndmask_b32 v10, v10, v122, s3
	v_cndmask_b32_e64 v11, v11, v141, s4
	v_cmp_eq_u32_e64 s3, 6, v35
	v_dual_cndmask_b32 v28, v28, v44, vcc_lo :: v_dual_cndmask_b32 v27, v27, v45, s2
	s_delay_alu instid0(VALU_DEP_4) | instskip(SKIP_1) | instid1(VALU_DEP_4)
	v_cndmask_b32_e64 v10, v10, v138, s4
	v_cmp_eq_u32_e64 s4, 5, v35
	v_cndmask_b32_e64 v53, v53, v43, s3
	v_fmac_f64_e32 v[66:67], v[2:3], v[14:15]
	v_lshl_add_u32 v2, v35, 2, v133
	v_cndmask_b32_e64 v10, v10, v48, s5
	v_cndmask_b32_e64 v11, v11, v32, s5
	v_cmp_eq_u32_e64 s5, 4, v35
	v_cndmask_b32_e64 v26, v26, v44, s2
	ds_load_b32 v2, v2 offset:40
	v_dual_cndmask_b32 v10, v10, v46, s6 :: v_dual_cndmask_b32 v11, v11, v59, s6
	v_cmp_eq_u32_e64 s6, 3, v35
	v_dual_cndmask_b32 v25, v78, v45, s3 :: v_dual_cndmask_b32 v24, v72, v44, s3
	v_cndmask_b32_e64 v55, v55, v43, s4
	s_delay_alu instid0(VALU_DEP_4)
	v_cndmask_b32_e64 v11, v11, v57, s7
	v_cndmask_b32_e64 v10, v10, v137, s7
	v_cmp_eq_u32_e64 s7, 2, v35
	v_dual_cndmask_b32 v23, v79, v45, s4 :: v_dual_cndmask_b32 v22, v73, v44, s4
	v_dual_cndmask_b32 v127, v49, v43, s5 :: v_dual_cndmask_b32 v21, v80, v45, s5
	;; [unrolled: 1-line block ×4, first 2 shown]
	v_fmac_f64_e32 v[64:65], v[10:11], v[14:15]
	v_dual_cndmask_b32 v111, v111, v43, s7 :: v_dual_cndmask_b32 v17, v110, v45, s7
	v_cndmask_b32_e64 v16, v76, v44, s7
	v_dual_cndmask_b32 v15, v112, v45, s8 :: v_dual_cndmask_b32 v14, v77, v44, s8
	v_dual_cndmask_b32 v115, v115, v43, s9 :: v_dual_cndmask_b32 v12, v70, v44, s9
	;; [unrolled: 1-line block ×3, first 2 shown]
	s_wait_dscnt 0x0
	scratch_store_b32 off, v2, off offset:4
	v_dual_cndmask_b32 v124, v58, v42, s6 :: v_dual_cndmask_b32 v110, v60, v42, s7
	v_cndmask_b32_e64 v112, v62, v42, s8
	v_cndmask_b32_e64 v114, v34, v42, s9
	v_dual_cndmask_b32 v131, v130, v67, s5 :: v_dual_cndmask_b32 v130, v69, v66, s5
	v_dual_cndmask_b32 v129, v129, v67, s6 :: v_dual_cndmask_b32 v128, v128, v66, s6
	s_wait_xcnt 0x0
	v_dual_cndmask_b32 v3, v140, v67, s7 :: v_dual_cndmask_b32 v2, v139, v66, s7
	v_dual_cndmask_b32 v117, v117, v67, s8 :: v_dual_cndmask_b32 v116, v116, v66, s8
	;; [unrolled: 1-line block ×3, first 2 shown]
	v_dual_mov_b32 v41, v135 :: v_dual_cndmask_b32 v30, v30, v42
	v_dual_cndmask_b32 v62, v36, v42, s2 :: v_dual_cndmask_b32 v60, v37, v42, s3
	v_dual_cndmask_b32 v58, v40, v42, s4 :: v_dual_cndmask_b32 v61, v61, v67, vcc_lo
	v_dual_cndmask_b32 v50, v50, v66, vcc_lo :: v_dual_cndmask_b32 v63, v63, v67, s2
	v_dual_cndmask_b32 v123, v123, v65, s5 :: v_dual_cndmask_b32 v122, v122, v64, s5
	v_dual_cndmask_b32 v120, v120, v64, s6 :: v_dual_cndmask_b32 v121, v121, v65, s6
	;; [unrolled: 1-line block ×5, first 2 shown]
	v_cndmask_b32_e32 v57, v57, v65, vcc_lo
	v_dual_cndmask_b32 v44, v137, v64, vcc_lo :: v_dual_cndmask_b32 v59, v59, v65, s2
	v_dual_cndmask_b32 v46, v46, v64, s2 :: v_dual_cndmask_b32 v49, v32, v65, s3
	v_dual_cndmask_b32 v48, v48, v64, s3 :: v_dual_cndmask_b32 v45, v141, v65, s4
	;; [unrolled: 1-line block ×4, first 2 shown]
	v_cndmask_b32_e64 v11, v68, v67, s4
	v_cndmask_b32_e64 v56, v56, v66, s4
.LBB0_72:
	s_or_b32 exec_lo, exec_lo, s33
	scratch_store_b32 off, v33, off
	s_wait_xcnt 0x0
	s_and_saveexec_b32 s3, s0
	s_cbranch_execz .LBB0_81
; %bb.73:
	v_mov_b32_e32 v32, v134
	s_mov_b32 s4, 0
	s_branch .LBB0_75
.LBB0_74:                               ;   in Loop: Header=BB0_75 Depth=1
	s_wait_xcnt 0x0
	s_or_b32 exec_lo, exec_lo, s5
	s_wait_dscnt 0x0
	v_cmp_gt_i32_e32 vcc_lo, 0, v33
	v_mov_b32_e32 v32, v33
	s_or_b32 s4, vcc_lo, s4
	s_delay_alu instid0(SALU_CYCLE_1)
	s_and_not1_b32 exec_lo, exec_lo, s4
	s_cbranch_execz .LBB0_81
.LBB0_75:                               ; =>This Inner Loop Header: Depth=1
	s_delay_alu instid0(VALU_DEP_1) | instskip(SKIP_4) | instid1(VALU_DEP_2)
	v_cmp_eq_u32_e32 vcc_lo, 1, v32
	v_cmp_eq_u32_e64 s2, 2, v32
	s_mov_b32 s5, exec_lo
	v_dual_cndmask_b32 v33, v119, v117 :: v_dual_cndmask_b32 v34, v118, v116
	v_cmp_eq_u32_e32 vcc_lo, 3, v32
	v_dual_cndmask_b32 v33, v33, v3, s2 :: v_dual_cndmask_b32 v34, v34, v2, s2
	s_mov_b32 s2, 0
	s_delay_alu instid0(VALU_DEP_1) | instskip(SKIP_1) | instid1(VALU_DEP_2)
	v_dual_cndmask_b32 v33, v33, v129 :: v_dual_cndmask_b32 v34, v34, v128
	v_cmp_eq_u32_e32 vcc_lo, 4, v32
	v_dual_cndmask_b32 v33, v33, v131 :: v_dual_cndmask_b32 v34, v34, v130
	v_cmp_eq_u32_e32 vcc_lo, 5, v32
	s_delay_alu instid0(VALU_DEP_2) | instskip(SKIP_1) | instid1(VALU_DEP_2)
	v_dual_cndmask_b32 v33, v33, v11 :: v_dual_cndmask_b32 v34, v34, v56
	v_cmp_eq_u32_e32 vcc_lo, 6, v32
	v_dual_cndmask_b32 v33, v33, v47 :: v_dual_cndmask_b32 v34, v34, v54
	v_cmp_eq_u32_e32 vcc_lo, 7, v32
	s_delay_alu instid0(VALU_DEP_2) | instskip(SKIP_1) | instid1(VALU_DEP_2)
	v_dual_cndmask_b32 v33, v33, v63 :: v_dual_cndmask_b32 v34, v34, v52
	v_cmp_eq_u32_e32 vcc_lo, 8, v32
	v_dual_cndmask_b32 v37, v33, v61 :: v_dual_cndmask_b32 v36, v34, v50
	v_lshl_add_u32 v34, v32, 2, v133
	ds_load_b32 v33, v34 offset:40
	v_cmpx_ngt_f64_e32 0, v[36:37]
	s_xor_b32 s5, exec_lo, s5
	s_cbranch_execnz .LBB0_78
; %bb.76:                               ;   in Loop: Header=BB0_75 Depth=1
	s_or_saveexec_b32 s5, s5
	v_mov_b32_e32 v36, 0
	s_xor_b32 exec_lo, exec_lo, s5
	s_cbranch_execnz .LBB0_79
.LBB0_77:                               ;   in Loop: Header=BB0_75 Depth=1
	s_or_b32 exec_lo, exec_lo, s5
	s_and_saveexec_b32 s5, s2
	s_cbranch_execz .LBB0_74
	s_branch .LBB0_80
.LBB0_78:                               ;   in Loop: Header=BB0_75 Depth=1
	scratch_load_b32 v34, off, off
	s_wait_loadcnt 0x0
	v_cmp_eq_u32_e32 vcc_lo, -1, v34
                                        ; implicit-def: $vgpr34
	s_and_b32 s2, vcc_lo, exec_lo
	s_wait_xcnt 0x0
	s_or_saveexec_b32 s5, s5
	v_mov_b32_e32 v36, 0
	s_xor_b32 exec_lo, exec_lo, s5
	s_cbranch_execz .LBB0_77
.LBB0_79:                               ;   in Loop: Header=BB0_75 Depth=1
	scratch_load_b32 v37, off, off offset:4
	v_mov_b32_e32 v36, 4
	s_or_b32 s2, s2, exec_lo
	s_wait_loadcnt 0x0
	ds_store_b32 v34, v37 offset:40
	s_wait_xcnt 0x0
	s_or_b32 exec_lo, exec_lo, s5
	s_and_saveexec_b32 s5, s2
	s_cbranch_execz .LBB0_74
.LBB0_80:                               ;   in Loop: Header=BB0_75 Depth=1
	scratch_store_b32 v36, v32, off
	s_branch .LBB0_74
.LBB0_81:
	s_or_b32 exec_lo, exec_lo, s3
	s_and_saveexec_b32 s2, s1
	s_cbranch_execz .LBB0_83
; %bb.82:
	v_cmp_gt_f64_e32 vcc_lo, 0, v[0:1]
	v_lshl_add_u32 v0, v38, 2, v133
	v_lshl_add_u32 v1, v41, 2, v133
	;; [unrolled: 1-line block ×3, first 2 shown]
	s_and_b32 s1, s0, vcc_lo
	s_delay_alu instid0(SALU_CYCLE_1) | instskip(NEXT) | instid1(SALU_CYCLE_1)
	s_or_b32 s1, s31, s1
	v_cndmask_b32_e64 v32, v39, -1, s1
	ds_store_b32 v0, v41 offset:40
	ds_store_b32 v1, v35 offset:40
	;; [unrolled: 1-line block ×3, first 2 shown]
.LBB0_83:
	s_or_b32 exec_lo, exec_lo, s2
	scratch_load_b32 v40, off, off
	v_mov_b64_e32 v[38:39], 0
	v_mov_b64_e32 v[34:35], 0
	;; [unrolled: 1-line block ×5, first 2 shown]
	s_mov_b32 s8, exec_lo
	s_wait_loadcnt 0x0
	v_cmpx_lt_i32_e32 -1, v40
	s_cbranch_execz .LBB0_89
; %bb.84:
	v_lshl_add_u32 v0, v40, 2, v133
	v_mov_b64_e32 v[32:33], 0
	v_mov_b64_e32 v[36:37], 0
	;; [unrolled: 1-line block ×3, first 2 shown]
	s_mov_b32 s9, exec_lo
	ds_load_b32 v66, v0 offset:40
	s_wait_dscnt 0x0
	v_lshl_add_u32 v0, v66, 2, v133
	ds_load_b32 v137, v0 offset:40
	v_mov_b64_e32 v[0:1], 0
	s_wait_dscnt 0x0
	v_cmpx_lt_i32_e32 -1, v137
	s_cbranch_execz .LBB0_88
; %bb.85:
	v_cmp_eq_u32_e32 vcc_lo, 1, v40
	v_cmp_eq_u32_e64 s1, 2, v40
	v_cmp_eq_u32_e64 s2, 3, v40
	;; [unrolled: 1-line block ×4, first 2 shown]
	v_dual_cndmask_b32 v0, v115, v113 :: v_dual_cndmask_b32 v1, v114, v112
	v_cmp_eq_u32_e64 s5, 6, v40
	v_cmp_eq_u32_e64 s6, 7, v40
	;; [unrolled: 1-line block ×3, first 2 shown]
	s_delay_alu instid0(VALU_DEP_4) | instskip(SKIP_3) | instid1(VALU_DEP_4)
	v_dual_cndmask_b32 v0, v0, v111, s1 :: v_dual_cndmask_b32 v1, v1, v110, s1
	v_mov_b64_e32 v[34:35], 0
	v_mov_b64_e32 v[36:37], 0
	;; [unrolled: 1-line block ×3, first 2 shown]
	v_dual_cndmask_b32 v0, v0, v125, s2 :: v_dual_cndmask_b32 v1, v1, v124, s2
	s_mov_b32 s10, 0
	s_delay_alu instid0(VALU_DEP_1) | instskip(NEXT) | instid1(VALU_DEP_1)
	v_dual_cndmask_b32 v0, v0, v127, s3 :: v_dual_cndmask_b32 v1, v1, v126, s3
	v_dual_cndmask_b32 v0, v0, v55, s4 :: v_dual_cndmask_b32 v1, v1, v58, s4
	s_delay_alu instid0(VALU_DEP_1) | instskip(NEXT) | instid1(VALU_DEP_1)
	v_dual_cndmask_b32 v0, v0, v53, s5 :: v_dual_cndmask_b32 v1, v1, v60, s5
	v_dual_cndmask_b32 v0, v0, v51, s6 :: v_dual_cndmask_b32 v1, v1, v62, s6
	s_delay_alu instid0(VALU_DEP_1) | instskip(SKIP_1) | instid1(VALU_DEP_1)
	v_dual_cndmask_b32 v41, v0, v31, s7 :: v_dual_cndmask_b32 v40, v1, v30, s7
	v_dual_cndmask_b32 v0, v13, v15 :: v_dual_cndmask_b32 v1, v12, v14
	v_dual_cndmask_b32 v0, v0, v17, s1 :: v_dual_cndmask_b32 v1, v1, v16, s1
	s_delay_alu instid0(VALU_DEP_1) | instskip(NEXT) | instid1(VALU_DEP_1)
	v_dual_cndmask_b32 v0, v0, v19, s2 :: v_dual_cndmask_b32 v1, v1, v18, s2
	v_dual_cndmask_b32 v0, v0, v21, s3 :: v_dual_cndmask_b32 v1, v1, v20, s3
	s_delay_alu instid0(VALU_DEP_1) | instskip(NEXT) | instid1(VALU_DEP_1)
	v_dual_cndmask_b32 v0, v0, v23, s4 :: v_dual_cndmask_b32 v1, v1, v22, s4
	;; [unrolled: 3-line block ×3, first 2 shown]
	v_dual_cndmask_b32 v43, v0, v29, s7 :: v_dual_cndmask_b32 v42, v1, v28, s7
	v_dual_cndmask_b32 v0, v109, v107 :: v_dual_cndmask_b32 v1, v108, v106
	v_cmp_eq_u32_e32 vcc_lo, 1, v66
	s_delay_alu instid0(VALU_DEP_2) | instskip(SKIP_1) | instid1(VALU_DEP_2)
	v_dual_cndmask_b32 v0, v0, v105, s1 :: v_dual_cndmask_b32 v1, v1, v104, s1
	v_cmp_eq_u32_e64 s1, 2, v66
	v_dual_cndmask_b32 v0, v0, v121, s2 :: v_dual_cndmask_b32 v1, v1, v120, s2
	v_cmp_eq_u32_e64 s2, 3, v66
	s_delay_alu instid0(VALU_DEP_2) | instskip(SKIP_1) | instid1(VALU_DEP_2)
	v_dual_cndmask_b32 v0, v0, v123, s3 :: v_dual_cndmask_b32 v1, v1, v122, s3
	v_cmp_eq_u32_e64 s3, 4, v66
	v_dual_cndmask_b32 v0, v0, v45, s4 :: v_dual_cndmask_b32 v1, v1, v10, s4
	v_cmp_eq_u32_e64 s4, 5, v66
	;; [unrolled: 5-line block ×3, first 2 shown]
	s_delay_alu instid0(VALU_DEP_2) | instskip(SKIP_2) | instid1(VALU_DEP_3)
	v_dual_cndmask_b32 v65, v0, v57, s7 :: v_dual_cndmask_b32 v64, v1, v44, s7
	v_dual_cndmask_b32 v0, v13, v15 :: v_dual_cndmask_b32 v1, v12, v14
	v_cmp_eq_u32_e64 s7, 8, v66
	v_mul_f64_e32 v[68:69], v[64:65], v[40:41]
	s_delay_alu instid0(VALU_DEP_3) | instskip(SKIP_2) | instid1(VALU_DEP_3)
	v_dual_cndmask_b32 v0, v0, v17, s1 :: v_dual_cndmask_b32 v1, v1, v16, s1
	v_mul_f64_e32 v[70:71], v[42:43], v[64:65]
	v_mul_f64_e32 v[72:73], v[64:65], v[64:65]
	v_dual_cndmask_b32 v0, v0, v19, s2 :: v_dual_cndmask_b32 v1, v1, v18, s2
	s_delay_alu instid0(VALU_DEP_1) | instskip(NEXT) | instid1(VALU_DEP_1)
	v_dual_cndmask_b32 v0, v0, v21, s3 :: v_dual_cndmask_b32 v1, v1, v20, s3
	v_dual_cndmask_b32 v0, v0, v23, s4 :: v_dual_cndmask_b32 v1, v1, v22, s4
	s_delay_alu instid0(VALU_DEP_1) | instskip(NEXT) | instid1(VALU_DEP_1)
	v_dual_cndmask_b32 v0, v0, v25, s5 :: v_dual_cndmask_b32 v1, v1, v24, s5
	v_dual_cndmask_b32 v0, v0, v27, s6 :: v_dual_cndmask_b32 v1, v1, v26, s6
	s_delay_alu instid0(VALU_DEP_1) | instskip(SKIP_1) | instid1(VALU_DEP_2)
	v_dual_cndmask_b32 v67, v0, v29, s7 :: v_dual_cndmask_b32 v66, v1, v28, s7
	v_dual_cndmask_b32 v0, v115, v113 :: v_dual_cndmask_b32 v1, v114, v112
	v_add_f64_e64 v[80:81], v[66:67], -v[42:43]
	s_delay_alu instid0(VALU_DEP_2) | instskip(NEXT) | instid1(VALU_DEP_1)
	v_dual_cndmask_b32 v0, v0, v111, s1 :: v_dual_cndmask_b32 v1, v1, v110, s1
	v_dual_cndmask_b32 v0, v0, v125, s2 :: v_dual_cndmask_b32 v1, v1, v124, s2
	s_delay_alu instid0(VALU_DEP_1) | instskip(NEXT) | instid1(VALU_DEP_1)
	v_dual_cndmask_b32 v0, v0, v127, s3 :: v_dual_cndmask_b32 v1, v1, v126, s3
	v_dual_cndmask_b32 v0, v0, v55, s4 :: v_dual_cndmask_b32 v1, v1, v58, s4
	s_delay_alu instid0(VALU_DEP_1) | instskip(NEXT) | instid1(VALU_DEP_1)
	v_dual_cndmask_b32 v0, v0, v53, s5 :: v_dual_cndmask_b32 v1, v1, v60, s5
	v_dual_cndmask_b32 v0, v0, v51, s6 :: v_dual_cndmask_b32 v1, v1, v62, s6
	s_delay_alu instid0(VALU_DEP_1) | instskip(SKIP_1) | instid1(VALU_DEP_2)
	v_dual_cndmask_b32 v75, v0, v31, s7 :: v_dual_cndmask_b32 v74, v1, v30, s7
	v_dual_cndmask_b32 v0, v109, v107 :: v_dual_cndmask_b32 v1, v108, v106
	v_add_f64_e64 v[78:79], v[74:75], -v[40:41]
	s_delay_alu instid0(VALU_DEP_2) | instskip(NEXT) | instid1(VALU_DEP_1)
	v_dual_cndmask_b32 v0, v0, v105, s1 :: v_dual_cndmask_b32 v1, v1, v104, s1
	v_dual_cndmask_b32 v0, v0, v121, s2 :: v_dual_cndmask_b32 v1, v1, v120, s2
	s_delay_alu instid0(VALU_DEP_1) | instskip(NEXT) | instid1(VALU_DEP_1)
	v_dual_cndmask_b32 v0, v0, v123, s3 :: v_dual_cndmask_b32 v1, v1, v122, s3
	v_dual_cndmask_b32 v0, v0, v45, s4 :: v_dual_cndmask_b32 v1, v1, v10, s4
	s_delay_alu instid0(VALU_DEP_1) | instskip(NEXT) | instid1(VALU_DEP_1)
	v_dual_cndmask_b32 v0, v0, v49, s5 :: v_dual_cndmask_b32 v1, v1, v48, s5
	v_dual_cndmask_b32 v0, v0, v59, s6 :: v_dual_cndmask_b32 v1, v1, v46, s6
	s_delay_alu instid0(VALU_DEP_1)
	v_dual_cndmask_b32 v77, v0, v57, s7 :: v_dual_cndmask_b32 v76, v1, v44, s7
	v_mov_b64_e32 v[0:1], 0
.LBB0_86:                               ; =>This Inner Loop Header: Depth=1
	v_cmp_eq_u32_e32 vcc_lo, 1, v137
	v_cmp_eq_u32_e64 s1, 2, v137
	v_cmp_eq_u32_e64 s2, 3, v137
	;; [unrolled: 1-line block ×4, first 2 shown]
	v_dual_cndmask_b32 v138, v115, v113 :: v_dual_cndmask_b32 v139, v114, v112
	v_cmp_eq_u32_e64 s5, 6, v137
	v_cmp_eq_u32_e64 s6, 7, v137
	v_cmp_eq_u32_e64 s7, 8, v137
	s_delay_alu instid0(VALU_DEP_4) | instskip(SKIP_2) | instid1(VALU_DEP_3)
	v_dual_cndmask_b32 v138, v138, v111, s1 :: v_dual_cndmask_b32 v139, v139, v110, s1
	v_fma_f64 v[148:149], v[76:77], v[76:77], v[72:73]
	v_add_f64_e32 v[150:151], v[64:65], v[76:77]
	v_dual_cndmask_b32 v141, v12, v14, vcc_lo :: v_dual_cndmask_b32 v138, v138, v125, s2
	s_delay_alu instid0(VALU_DEP_4) | instskip(NEXT) | instid1(VALU_DEP_2)
	v_cndmask_b32_e64 v139, v139, v124, s2
	v_dual_cndmask_b32 v141, v141, v16, s1 :: v_dual_cndmask_b32 v138, v138, v127, s3
	s_delay_alu instid0(VALU_DEP_2) | instskip(NEXT) | instid1(VALU_DEP_2)
	v_cndmask_b32_e64 v139, v139, v126, s3
	v_dual_cndmask_b32 v141, v141, v18, s2 :: v_dual_cndmask_b32 v138, v138, v55, s4
	s_delay_alu instid0(VALU_DEP_1) | instskip(NEXT) | instid1(VALU_DEP_1)
	v_dual_cndmask_b32 v139, v139, v58, s4 :: v_dual_cndmask_b32 v141, v141, v20, s3
	v_dual_cndmask_b32 v138, v138, v53, s5 :: v_dual_cndmask_b32 v139, v139, v60, s5
	s_delay_alu instid0(VALU_DEP_1) | instskip(NEXT) | instid1(VALU_DEP_1)
	v_dual_cndmask_b32 v141, v141, v22, s4 :: v_dual_cndmask_b32 v138, v138, v51, s6
	v_dual_cndmask_b32 v140, v139, v62, s6 :: v_dual_cndmask_b32 v141, v141, v24, s5
	s_delay_alu instid0(VALU_DEP_1) | instskip(SKIP_1) | instid1(VALU_DEP_1)
	v_dual_cndmask_b32 v139, v138, v31, s7 :: v_dual_cndmask_b32 v138, v140, v30, s7
	v_cndmask_b32_e32 v140, v13, v15, vcc_lo
	v_dual_cndmask_b32 v142, v141, v26, s6 :: v_dual_cndmask_b32 v140, v140, v17, s1
	s_delay_alu instid0(VALU_DEP_1) | instskip(NEXT) | instid1(VALU_DEP_1)
	v_cndmask_b32_e64 v140, v140, v19, s2
	v_cndmask_b32_e64 v140, v140, v21, s3
	s_delay_alu instid0(VALU_DEP_1) | instskip(NEXT) | instid1(VALU_DEP_1)
	v_cndmask_b32_e64 v140, v140, v23, s4
	v_cndmask_b32_e64 v140, v140, v25, s5
	s_delay_alu instid0(VALU_DEP_1) | instskip(NEXT) | instid1(VALU_DEP_1)
	v_cndmask_b32_e64 v140, v140, v27, s6
	v_dual_cndmask_b32 v141, v140, v29, s7 :: v_dual_cndmask_b32 v140, v142, v28, s7
	v_add_f64_e64 v[142:143], v[138:139], -v[40:41]
	s_delay_alu instid0(VALU_DEP_2) | instskip(NEXT) | instid1(VALU_DEP_2)
	v_add_f64_e64 v[144:145], v[140:141], -v[42:43]
	v_mul_f64_e32 v[80:81], v[142:143], v[80:81]
	s_delay_alu instid0(VALU_DEP_1) | instskip(SKIP_1) | instid1(VALU_DEP_1)
	v_fma_f64 v[78:79], v[144:145], v[78:79], -v[80:81]
	v_dual_cndmask_b32 v80, v109, v107 :: v_dual_cndmask_b32 v81, v108, v106
	v_dual_cndmask_b32 v80, v80, v105, s1 :: v_dual_cndmask_b32 v81, v81, v104, s1
	s_delay_alu instid0(VALU_DEP_1) | instskip(NEXT) | instid1(VALU_DEP_1)
	v_dual_cndmask_b32 v80, v80, v121, s2 :: v_dual_cndmask_b32 v81, v81, v120, s2
	v_dual_cndmask_b32 v80, v80, v123, s3 :: v_dual_cndmask_b32 v81, v81, v122, s3
	s_delay_alu instid0(VALU_DEP_1) | instskip(NEXT) | instid1(VALU_DEP_1)
	v_dual_cndmask_b32 v80, v80, v45, s4 :: v_dual_cndmask_b32 v81, v81, v10, s4
	;; [unrolled: 3-line block ×3, first 2 shown]
	v_dual_cndmask_b32 v147, v80, v57, s7 :: v_dual_cndmask_b32 v146, v81, v44, s7
	v_add_f64_e32 v[80:81], v[40:41], v[74:75]
	v_fma_f64 v[74:75], v[74:75], v[76:77], v[68:69]
	s_delay_alu instid0(VALU_DEP_3) | instskip(SKIP_1) | instid1(VALU_DEP_4)
	v_fmac_f64_e32 v[148:149], v[146:147], v[146:147]
	v_add_f64_e32 v[150:151], v[146:147], v[150:151]
	v_add_f64_e32 v[80:81], v[80:81], v[138:139]
	s_delay_alu instid0(VALU_DEP_4) | instskip(NEXT) | instid1(VALU_DEP_4)
	v_fmac_f64_e32 v[74:75], v[146:147], v[138:139]
	v_fmac_f64_e32 v[148:149], v[64:65], v[76:77]
	s_delay_alu instid0(VALU_DEP_4) | instskip(SKIP_1) | instid1(VALU_DEP_3)
	v_mul_f64_e32 v[152:153], v[150:151], v[78:79]
	v_fmac_f64_e32 v[34:35], v[150:151], v[78:79]
	v_fmac_f64_e32 v[148:149], v[64:65], v[146:147]
	s_delay_alu instid0(VALU_DEP_3) | instskip(NEXT) | instid1(VALU_DEP_2)
	v_mul_f64_e32 v[80:81], v[80:81], v[152:153]
	v_fmac_f64_e32 v[148:149], v[146:147], v[76:77]
	v_fma_f64 v[76:77], v[66:67], v[76:77], v[70:71]
	v_add_f64_e32 v[66:67], v[42:43], v[66:67]
	s_delay_alu instid0(VALU_DEP_4)
	v_fmac_f64_e32 v[80:81], v[74:75], v[78:79]
	v_mov_b64_e32 v[74:75], v[138:139]
	v_fmac_f64_e32 v[0:1], v[78:79], v[148:149]
	v_fmac_f64_e32 v[76:77], v[140:141], v[146:147]
	v_add_f64_e32 v[66:67], v[140:141], v[66:67]
	v_add_f64_e32 v[36:37], v[36:37], v[80:81]
	v_mov_b64_e32 v[80:81], v[144:145]
	s_delay_alu instid0(VALU_DEP_3) | instskip(NEXT) | instid1(VALU_DEP_1)
	v_mul_f64_e32 v[66:67], v[66:67], v[152:153]
	v_fmac_f64_e32 v[66:67], v[76:77], v[78:79]
	v_mov_b64_e32 v[78:79], v[142:143]
	v_mov_b64_e32 v[76:77], v[146:147]
	s_delay_alu instid0(VALU_DEP_3)
	v_add_f64_e32 v[32:33], v[32:33], v[66:67]
	v_lshl_add_u32 v66, v137, 2, v133
	ds_load_b32 v137, v66 offset:40
	v_mov_b64_e32 v[66:67], v[140:141]
	s_wait_dscnt 0x0
	v_cmp_gt_i32_e32 vcc_lo, 0, v137
	s_or_b32 s10, vcc_lo, s10
	s_delay_alu instid0(SALU_CYCLE_1)
	s_and_not1_b32 exec_lo, exec_lo, s10
	s_cbranch_execnz .LBB0_86
; %bb.87:
	s_or_b32 exec_lo, exec_lo, s10
.LBB0_88:
	s_delay_alu instid0(SALU_CYCLE_1)
	s_or_b32 exec_lo, exec_lo, s9
.LBB0_89:
	s_delay_alu instid0(SALU_CYCLE_1)
	s_or_b32 exec_lo, exec_lo, s8
	s_and_saveexec_b32 s9, s0
	s_cbranch_execz .LBB0_93
; %bb.90:
	v_mov_b32_e32 v38, v134
	s_mov_b64 s[10:11], 0xb58dee7a4ad4b81f
	s_mov_b32 s12, 0
.LBB0_91:                               ; =>This Inner Loop Header: Depth=1
	s_delay_alu instid0(VALU_DEP_1)
	v_cmp_eq_u32_e32 vcc_lo, 1, v38
	v_cmp_eq_u32_e64 s1, 2, v38
	v_cmp_eq_u32_e64 s2, 3, v38
	v_cmp_eq_u32_e64 s3, 4, v38
	v_cmp_eq_u32_e64 s4, 5, v38
	v_dual_cndmask_b32 v39, v119, v117 :: v_dual_cndmask_b32 v40, v118, v116
	v_cmp_eq_u32_e64 s5, 6, v38
	v_cmp_eq_u32_e64 s6, 7, v38
	;; [unrolled: 1-line block ×3, first 2 shown]
	s_delay_alu instid0(VALU_DEP_4) | instskip(SKIP_2) | instid1(VALU_DEP_3)
	v_dual_cndmask_b32 v39, v39, v3, s1 :: v_dual_cndmask_b32 v40, v40, v2, s1
	v_cmp_eq_u32_e64 s8, 0, v38
	v_lshl_add_u32 v38, v38, 2, v133
	v_dual_cndmask_b32 v39, v39, v129, s2 :: v_dual_cndmask_b32 v40, v40, v128, s2
	ds_load_b32 v38, v38
	v_dual_cndmask_b32 v39, v39, v131, s3 :: v_dual_cndmask_b32 v40, v40, v130, s3
	s_delay_alu instid0(VALU_DEP_1) | instskip(NEXT) | instid1(VALU_DEP_1)
	v_dual_cndmask_b32 v39, v39, v11, s4 :: v_dual_cndmask_b32 v40, v40, v56, s4
	v_dual_cndmask_b32 v39, v39, v47, s5 :: v_dual_cndmask_b32 v40, v40, v54, s5
	s_delay_alu instid0(VALU_DEP_1) | instskip(NEXT) | instid1(VALU_DEP_1)
	v_dual_cndmask_b32 v39, v39, v63, s6 :: v_dual_cndmask_b32 v40, v40, v52, s6
	v_dual_cndmask_b32 v41, v39, v61, s7 :: v_dual_cndmask_b32 v40, v40, v50, s7
	s_delay_alu instid0(VALU_DEP_1) | instskip(NEXT) | instid1(VALU_DEP_1)
	v_add_f64_e64 v[40:41], -v[40:41], s[10:11]
	v_dual_cndmask_b32 v117, v117, v41 :: v_dual_cndmask_b32 v116, v116, v40
	s_wait_dscnt 0x0
	v_cmp_gt_i32_e32 vcc_lo, 0, v38
	v_dual_cndmask_b32 v61, v61, v41, s7 :: v_dual_cndmask_b32 v50, v50, v40, s7
	v_dual_cndmask_b32 v63, v63, v41, s6 :: v_dual_cndmask_b32 v52, v52, v40, s6
	;; [unrolled: 1-line block ×8, first 2 shown]
	s_or_b32 s12, vcc_lo, s12
	s_delay_alu instid0(SALU_CYCLE_1)
	s_and_not1_b32 exec_lo, exec_lo, s12
	s_cbranch_execnz .LBB0_91
; %bb.92:
	s_or_b32 exec_lo, exec_lo, s12
	v_cmp_eq_u32_e32 vcc_lo, 1, v134
	v_cmp_eq_u32_e64 s1, 2, v134
	v_dual_cndmask_b32 v38, v119, v117 :: v_dual_cndmask_b32 v39, v118, v116
	v_cmp_eq_u32_e32 vcc_lo, 3, v134
	s_delay_alu instid0(VALU_DEP_2) | instskip(NEXT) | instid1(VALU_DEP_1)
	v_dual_cndmask_b32 v38, v38, v3, s1 :: v_dual_cndmask_b32 v39, v39, v2, s1
	v_dual_cndmask_b32 v38, v38, v129 :: v_dual_cndmask_b32 v39, v39, v128
	v_cmp_eq_u32_e32 vcc_lo, 4, v134
	s_delay_alu instid0(VALU_DEP_2) | instskip(SKIP_1) | instid1(VALU_DEP_2)
	v_dual_cndmask_b32 v38, v38, v131 :: v_dual_cndmask_b32 v39, v39, v130
	v_cmp_eq_u32_e32 vcc_lo, 5, v134
	v_dual_cndmask_b32 v38, v38, v11 :: v_dual_cndmask_b32 v39, v39, v56
	v_cmp_eq_u32_e32 vcc_lo, 6, v134
	s_delay_alu instid0(VALU_DEP_2) | instskip(SKIP_1) | instid1(VALU_DEP_2)
	v_dual_cndmask_b32 v38, v38, v47 :: v_dual_cndmask_b32 v39, v39, v54
	v_cmp_eq_u32_e32 vcc_lo, 7, v134
	v_dual_cndmask_b32 v38, v38, v63, vcc_lo :: v_dual_cndmask_b32 v40, v39, v52, vcc_lo
	v_cmp_eq_u32_e32 vcc_lo, 8, v134
	s_delay_alu instid0(VALU_DEP_2)
	v_dual_cndmask_b32 v39, v38, v61 :: v_dual_cndmask_b32 v38, v40, v50
.LBB0_93:
	s_or_b32 exec_lo, exec_lo, s9
	v_mov_b64_e32 v[42:43], -1
	v_mov_b64_e32 v[64:65], -1
	s_delay_alu instid0(VALU_DEP_3)
	v_mov_b64_e32 v[40:41], v[38:39]
	v_dual_mov_b32 v43, -1 :: v_dual_mov_b32 v68, -1
	s_and_saveexec_b32 s5, s0
	s_cbranch_execz .LBB0_97
; %bb.94:
	v_mov_b64_e32 v[66:67], v[38:39]
	v_dual_mov_b32 v43, -1 :: v_dual_mov_b32 v65, v134
	v_dual_mov_b32 v42, -1 :: v_dual_mov_b32 v64, -1
	v_mov_b32_e32 v68, -1
	s_mov_b32 s6, 0
.LBB0_95:                               ; =>This Inner Loop Header: Depth=1
	s_delay_alu instid0(VALU_DEP_1) | instskip(SKIP_4) | instid1(VALU_DEP_1)
	v_lshl_add_u32 v40, v65, 2, v133
	ds_load_b32 v69, v40
	s_wait_dscnt 0x0
	v_cmp_gt_i32_e32 vcc_lo, 0, v69
	v_cndmask_b32_e32 v72, v69, v134, vcc_lo
	v_cmp_eq_u32_e64 s1, 1, v72
	s_delay_alu instid0(VALU_DEP_1) | instskip(SKIP_3) | instid1(VALU_DEP_2)
	v_cndmask_b32_e64 v40, v119, v117, s1
	v_cmp_eq_u32_e64 s2, 2, v72
	v_cndmask_b32_e64 v41, v118, v116, s1
	v_cmp_eq_u32_e64 s1, 3, v72
	v_dual_cndmask_b32 v40, v40, v3, s2 :: v_dual_cndmask_b32 v41, v41, v2, s2
	s_delay_alu instid0(VALU_DEP_1) | instskip(SKIP_1) | instid1(VALU_DEP_1)
	v_dual_cndmask_b32 v40, v40, v129, s1 :: v_dual_cndmask_b32 v41, v41, v128, s1
	v_cmp_eq_u32_e64 s1, 4, v72
	v_dual_cndmask_b32 v40, v40, v131, s1 :: v_dual_cndmask_b32 v41, v41, v130, s1
	v_cmp_eq_u32_e64 s1, 5, v72
	s_delay_alu instid0(VALU_DEP_1) | instskip(SKIP_1) | instid1(VALU_DEP_1)
	v_dual_cndmask_b32 v40, v40, v11, s1 :: v_dual_cndmask_b32 v41, v41, v56, s1
	v_cmp_eq_u32_e64 s1, 6, v72
	v_dual_cndmask_b32 v40, v40, v47, s1 :: v_dual_cndmask_b32 v41, v41, v54, s1
	v_cmp_eq_u32_e64 s1, 7, v72
	s_delay_alu instid0(VALU_DEP_1) | instskip(SKIP_1) | instid1(VALU_DEP_1)
	v_dual_cndmask_b32 v40, v40, v63, s1 :: v_dual_cndmask_b32 v41, v41, v52, s1
	v_cmp_eq_u32_e64 s1, 8, v72
	v_dual_cndmask_b32 v71, v40, v61, s1 :: v_dual_cndmask_b32 v70, v41, v50, s1
	v_mov_b64_e32 v[40:41], v[66:67]
	s_delay_alu instid0(VALU_DEP_2) | instskip(NEXT) | instid1(VALU_DEP_2)
	v_cmp_gt_f64_e64 s2, 0, v[70:71]
	v_cmp_le_f64_e64 s1, 0, v[40:41]
	v_cmp_gt_f64_e64 s3, 0, v[40:41]
	s_and_b32 s1, s1, s2
	s_delay_alu instid0(SALU_CYCLE_1)
	v_cndmask_b32_e64 v64, v64, v72, s1
	v_cmp_le_f64_e64 s4, 0, v[70:71]
	v_mov_b64_e32 v[66:67], v[70:71]
	v_cndmask_b32_e64 v43, v43, v65, s1
	s_and_b32 s2, s3, s4
	s_or_b32 s6, vcc_lo, s6
	v_dual_cndmask_b32 v68, v68, v72, s2 :: v_dual_cndmask_b32 v42, v42, v65, s2
	v_mov_b32_e32 v65, v69
	s_and_not1_b32 exec_lo, exec_lo, s6
	s_cbranch_execnz .LBB0_95
; %bb.96:
	s_or_b32 exec_lo, exec_lo, s6
.LBB0_97:
	s_delay_alu instid0(SALU_CYCLE_1)
	s_or_b32 exec_lo, exec_lo, s5
	v_dual_mov_b32 v66, -1 :: v_dual_mov_b32 v67, -1
	v_cmp_lt_i32_e64 s1, -1, v43
	v_mov_b32_e32 v65, -1
	s_and_saveexec_b32 s31, s1
	s_cbranch_execz .LBB0_99
; %bb.98:
	v_cmp_eq_u32_e64 s2, 1, v64
	v_cmp_eq_u32_e64 s3, 2, v64
	;; [unrolled: 1-line block ×5, first 2 shown]
	v_cndmask_b32_e64 v65, v119, v117, s2
	v_cmp_eq_u32_e64 s9, 6, v64
	v_cmp_eq_u32_e64 s10, 7, v64
	v_cmp_eq_u32_e64 s11, 8, v64
	s_delay_alu instid0(VALU_DEP_4) | instskip(SKIP_3) | instid1(VALU_DEP_4)
	v_dual_cndmask_b32 v64, v118, v116, s2 :: v_dual_cndmask_b32 v65, v65, v3, s3
	v_cmp_eq_u32_e64 s12, 1, v43
	v_cmp_eq_u32_e64 s13, 2, v43
	v_cmp_eq_u32_e64 s14, 3, v43
	v_dual_cndmask_b32 v64, v64, v2, s3 :: v_dual_cndmask_b32 v65, v65, v129, s4
	v_cmp_eq_u32_e64 s15, 4, v43
	v_cmp_eq_u32_e64 s16, 5, v43
	v_cmp_eq_u32_e64 s17, 6, v43
	s_delay_alu instid0(VALU_DEP_4) | instskip(SKIP_3) | instid1(VALU_DEP_4)
	v_dual_cndmask_b32 v64, v64, v128, s4 :: v_dual_cndmask_b32 v65, v65, v131, s5
	v_cmp_eq_u32_e64 s18, 7, v43
	v_cmp_eq_u32_e64 s19, 8, v43
	v_cmp_eq_u32_e64 s25, 7, v135
	v_dual_cndmask_b32 v64, v64, v130, s5 :: v_dual_cndmask_b32 v65, v65, v11, s6
	;; [unrolled: 9-line block ×3, first 2 shown]
	v_cmp_eq_u32_e64 s23, 0, v135
	v_cndmask_b32_e64 v69, v12, v14, s2
	s_delay_alu instid0(VALU_DEP_3) | instskip(NEXT) | instid1(VALU_DEP_1)
	v_dual_cndmask_b32 v64, v64, v52, s10 :: v_dual_cndmask_b32 v71, v65, v61, s11
	v_dual_cndmask_b32 v65, v118, v116, s12 :: v_dual_cndmask_b32 v70, v64, v50, s11
	s_delay_alu instid0(VALU_DEP_1) | instskip(NEXT) | instid1(VALU_DEP_1)
	v_dual_cndmask_b32 v64, v119, v117, s12 :: v_dual_cndmask_b32 v65, v65, v2, s13
	v_dual_cndmask_b32 v64, v64, v3, s13 :: v_dual_cndmask_b32 v65, v65, v128, s14
	s_delay_alu instid0(VALU_DEP_1) | instskip(NEXT) | instid1(VALU_DEP_1)
	;; [unrolled: 3-line block ×4, first 2 shown]
	v_dual_cndmask_b32 v64, v64, v63, s18 :: v_dual_cndmask_b32 v72, v65, v50, s19
	v_cndmask_b32_e64 v73, v64, v61, s19
	v_add_f64_e64 v[64:65], -v[70:71], 0
	s_delay_alu instid0(VALU_DEP_2) | instskip(NEXT) | instid1(VALU_DEP_1)
	v_add_f64_e64 v[74:75], v[72:73], -v[70:71]
	v_div_scale_f64 v[76:77], null, v[74:75], v[74:75], v[64:65]
	s_delay_alu instid0(VALU_DEP_1) | instskip(SKIP_1) | instid1(TRANS32_DEP_1)
	v_rcp_f64_e32 v[78:79], v[76:77]
	v_nop
	v_fma_f64 v[80:81], -v[76:77], v[78:79], 1.0
	s_delay_alu instid0(VALU_DEP_1) | instskip(NEXT) | instid1(VALU_DEP_1)
	v_fmac_f64_e32 v[78:79], v[78:79], v[80:81]
	v_fma_f64 v[80:81], -v[76:77], v[78:79], 1.0
	s_delay_alu instid0(VALU_DEP_1) | instskip(SKIP_1) | instid1(VALU_DEP_1)
	v_fmac_f64_e32 v[78:79], v[78:79], v[80:81]
	v_div_scale_f64 v[80:81], vcc_lo, v[64:65], v[74:75], v[64:65]
	v_mul_f64_e32 v[138:139], v[80:81], v[78:79]
	s_delay_alu instid0(VALU_DEP_1) | instskip(NEXT) | instid1(VALU_DEP_1)
	v_fma_f64 v[76:77], -v[76:77], v[138:139], v[80:81]
	v_div_fmas_f64 v[76:77], v[76:77], v[78:79], v[138:139]
	v_cmp_eq_u32_e32 vcc_lo, 8, v135
	s_delay_alu instid0(VALU_DEP_2) | instskip(SKIP_1) | instid1(VALU_DEP_1)
	v_div_fixup_f64 v[74:75], v[76:77], v[74:75], v[64:65]
	v_dual_cndmask_b32 v64, v115, v113, s12 :: v_dual_cndmask_b32 v65, v114, v112, s12
	v_dual_cndmask_b32 v64, v64, v111, s13 :: v_dual_cndmask_b32 v65, v65, v110, s13
	s_delay_alu instid0(VALU_DEP_1) | instskip(NEXT) | instid1(VALU_DEP_1)
	v_dual_cndmask_b32 v64, v64, v125, s14 :: v_dual_cndmask_b32 v65, v65, v124, s14
	v_dual_cndmask_b32 v64, v64, v127, s15 :: v_dual_cndmask_b32 v65, v65, v126, s15
	s_delay_alu instid0(VALU_DEP_1) | instskip(NEXT) | instid1(VALU_DEP_1)
	v_dual_cndmask_b32 v64, v64, v55, s16 :: v_dual_cndmask_b32 v65, v65, v58, s16
	v_dual_cndmask_b32 v64, v64, v53, s17 :: v_dual_cndmask_b32 v65, v65, v60, s17
	s_delay_alu instid0(VALU_DEP_1) | instskip(SKIP_1) | instid1(VALU_DEP_2)
	v_dual_cndmask_b32 v64, v64, v51, s18 :: v_dual_cndmask_b32 v65, v65, v62, s18
	v_add_f64_e64 v[78:79], -v[74:75], 1.0
	v_dual_cndmask_b32 v77, v64, v31, s19 :: v_dual_cndmask_b32 v76, v65, v30, s19
	v_dual_cndmask_b32 v64, v115, v113, s2 :: v_dual_cndmask_b32 v65, v114, v112, s2
	s_delay_alu instid0(VALU_DEP_1) | instskip(NEXT) | instid1(VALU_DEP_1)
	v_dual_cndmask_b32 v64, v64, v111, s3 :: v_dual_cndmask_b32 v65, v65, v110, s3
	v_dual_cndmask_b32 v64, v64, v125, s4 :: v_dual_cndmask_b32 v65, v65, v124, s4
	s_delay_alu instid0(VALU_DEP_1) | instskip(NEXT) | instid1(VALU_DEP_1)
	v_dual_cndmask_b32 v64, v64, v127, s5 :: v_dual_cndmask_b32 v65, v65, v126, s5
	v_dual_cndmask_b32 v64, v64, v55, s6 :: v_dual_cndmask_b32 v65, v65, v58, s6
	s_delay_alu instid0(VALU_DEP_1) | instskip(NEXT) | instid1(VALU_DEP_1)
	v_dual_cndmask_b32 v64, v64, v53, s9 :: v_dual_cndmask_b32 v65, v65, v60, s9
	v_dual_cndmask_b32 v64, v64, v51, s10 :: v_dual_cndmask_b32 v67, v65, v62, s10
	s_delay_alu instid0(VALU_DEP_1) | instskip(SKIP_1) | instid1(VALU_DEP_1)
	v_dual_cndmask_b32 v65, v64, v31, s11 :: v_dual_cndmask_b32 v64, v67, v30, s11
	v_cndmask_b32_e64 v67, v13, v15, s2
	v_dual_mul_f64 v[64:65], v[64:65], v[78:79] :: v_dual_cndmask_b32 v67, v67, v17, s3
	s_delay_alu instid0(VALU_DEP_1) | instskip(NEXT) | instid1(VALU_DEP_1)
	v_dual_cndmask_b32 v67, v67, v19, s4 :: v_dual_cndmask_b32 v69, v69, v16, s3
	v_dual_cndmask_b32 v67, v67, v21, s5 :: v_dual_cndmask_b32 v69, v69, v18, s4
	s_delay_alu instid0(VALU_DEP_1) | instskip(NEXT) | instid1(VALU_DEP_1)
	v_dual_cndmask_b32 v67, v67, v23, s6 :: v_dual_cndmask_b32 v69, v69, v20, s5
	v_dual_cndmask_b32 v67, v67, v25, s9 :: v_dual_cndmask_b32 v69, v69, v22, s6
	s_delay_alu instid0(VALU_DEP_1) | instskip(SKIP_1) | instid1(VALU_DEP_2)
	v_dual_cndmask_b32 v67, v67, v27, s10 :: v_dual_cndmask_b32 v69, v69, v24, s9
	v_fmac_f64_e32 v[64:65], v[76:77], v[74:75]
	v_dual_cndmask_b32 v77, v67, v29, s11 :: v_dual_cndmask_b32 v67, v13, v15, s12
	s_delay_alu instid0(VALU_DEP_1) | instskip(NEXT) | instid1(VALU_DEP_1)
	v_dual_cndmask_b32 v69, v69, v26, s10 :: v_dual_cndmask_b32 v67, v67, v17, s13
	v_dual_cndmask_b32 v76, v69, v28, s11 :: v_dual_cndmask_b32 v69, v12, v14, s12
	s_delay_alu instid0(VALU_DEP_2) | instskip(NEXT) | instid1(VALU_DEP_2)
	v_cndmask_b32_e64 v67, v67, v19, s14
	v_mul_f64_e32 v[76:77], v[76:77], v[78:79]
	s_delay_alu instid0(VALU_DEP_2) | instskip(NEXT) | instid1(VALU_DEP_1)
	v_dual_cndmask_b32 v69, v69, v16, s13 :: v_dual_cndmask_b32 v67, v67, v21, s15
	v_dual_cndmask_b32 v69, v69, v18, s14 :: v_dual_cndmask_b32 v67, v67, v23, s16
	s_delay_alu instid0(VALU_DEP_1) | instskip(NEXT) | instid1(VALU_DEP_1)
	v_dual_cndmask_b32 v69, v69, v20, s15 :: v_dual_cndmask_b32 v67, v67, v25, s17
	v_dual_cndmask_b32 v69, v69, v22, s16 :: v_dual_cndmask_b32 v62, v62, v64, s25
	v_cndmask_b32_e64 v58, v58, v64, s8
	v_dual_cndmask_b32 v30, v30, v64, vcc_lo :: v_dual_cndmask_b32 v60, v60, v64, s7
	v_cndmask_b32_e64 v51, v51, v65, s25
	v_cndmask_b32_e64 v55, v55, v65, s8
	v_dual_cndmask_b32 v31, v31, v65, vcc_lo :: v_dual_cndmask_b32 v53, v53, v65, s7
	v_dual_cndmask_b32 v69, v69, v24, s17 :: v_dual_cndmask_b32 v67, v67, v27, s18
	v_cndmask_b32_e64 v125, v125, v65, s20
	v_cndmask_b32_e64 v113, v113, v65, s22
	s_delay_alu instid0(VALU_DEP_3) | instskip(SKIP_1) | instid1(VALU_DEP_2)
	v_dual_cndmask_b32 v69, v69, v26, s18 :: v_dual_cndmask_b32 v81, v67, v29, s19
	v_cndmask_b32_e64 v67, v126, v64, s24
	v_cndmask_b32_e64 v80, v69, v28, s19
	;; [unrolled: 1-line block ×3, first 2 shown]
	s_delay_alu instid0(VALU_DEP_2) | instskip(SKIP_1) | instid1(VALU_DEP_2)
	v_fmac_f64_e32 v[76:77], v[80:81], v[74:75]
	v_dual_cndmask_b32 v80, v110, v64, s21 :: v_dual_cndmask_b32 v81, v112, v64, s22
	v_dual_cndmask_b32 v64, v114, v64, s23 :: v_dual_cndmask_b32 v29, v29, v77, vcc_lo
	s_delay_alu instid0(VALU_DEP_3)
	v_dual_cndmask_b32 v28, v28, v76, vcc_lo :: v_dual_cndmask_b32 v26, v26, v76, s25
	v_dual_cndmask_b32 v110, v24, v76, s7 :: v_dual_cndmask_b32 v112, v22, v76, s8
	v_dual_cndmask_b32 v114, v20, v76, s24 :: v_dual_cndmask_b32 v124, v18, v76, s20
	;; [unrolled: 1-line block ×4, first 2 shown]
	v_cndmask_b32_e64 v27, v27, v77, s25
	v_dual_cndmask_b32 v139, v23, v77, s8 :: v_dual_cndmask_b32 v140, v21, v77, s24
	v_dual_cndmask_b32 v141, v19, v77, s20 :: v_dual_cndmask_b32 v142, v17, v77, s21
	;; [unrolled: 1-line block ×4, first 2 shown]
	v_cndmask_b32_e64 v15, v108, v106, s12
	v_cmp_eq_u32_e64 s2, 4, v68
	s_delay_alu instid0(VALU_DEP_3) | instskip(NEXT) | instid1(VALU_DEP_3)
	v_dual_cndmask_b32 v12, v12, v105, s3 :: v_dual_cndmask_b32 v13, v13, v104, s3
	v_cndmask_b32_e64 v15, v15, v104, s13
	v_cmp_eq_u32_e64 s3, 5, v68
	s_delay_alu instid0(VALU_DEP_3) | instskip(NEXT) | instid1(VALU_DEP_3)
	v_dual_cndmask_b32 v12, v12, v121, s4 :: v_dual_cndmask_b32 v13, v13, v120, s4
	;; [unrolled: 4-line block ×5, first 2 shown]
	v_cndmask_b32_e64 v15, v15, v48, s17
	v_cmp_eq_u32_e64 s9, 3, v68
	s_delay_alu instid0(VALU_DEP_3) | instskip(SKIP_1) | instid1(VALU_DEP_2)
	v_dual_cndmask_b32 v12, v12, v59, s10 :: v_dual_cndmask_b32 v14, v13, v46, s10
	v_cmp_eq_u32_e64 s10, 1, v42
	v_dual_cndmask_b32 v16, v15, v46, s18 :: v_dual_cndmask_b32 v13, v12, v57, s11
	s_delay_alu instid0(VALU_DEP_3) | instskip(SKIP_2) | instid1(VALU_DEP_3)
	v_dual_cndmask_b32 v12, v14, v44, s11 :: v_dual_cndmask_b32 v14, v109, v107, s12
	v_cmp_eq_u32_e64 s11, 4, v42
	v_cmp_eq_u32_e64 s12, 5, v42
	v_dual_mul_f64 v[12:13], v[12:13], v[78:79] :: v_dual_cndmask_b32 v14, v14, v105, s13
	v_cmp_eq_u32_e64 s13, 6, v42
	s_delay_alu instid0(VALU_DEP_2) | instskip(SKIP_1) | instid1(VALU_DEP_2)
	v_cndmask_b32_e64 v14, v14, v121, s14
	v_cmp_eq_u32_e64 s14, 7, v42
	v_cndmask_b32_e64 v14, v14, v123, s15
	v_cmp_eq_u32_e64 s15, 8, v42
	s_delay_alu instid0(VALU_DEP_2) | instskip(SKIP_1) | instid1(VALU_DEP_2)
	v_cndmask_b32_e64 v14, v14, v45, s16
	v_cmp_eq_u32_e64 s16, 3, v42
	v_cndmask_b32_e64 v14, v14, v49, s17
	v_cmp_eq_u32_e64 s17, 2, v42
	s_delay_alu instid0(VALU_DEP_2) | instskip(SKIP_1) | instid1(VALU_DEP_2)
	v_cndmask_b32_e64 v14, v14, v59, s18
	v_cmp_eq_u32_e64 s18, 2, v68
	v_dual_cndmask_b32 v15, v14, v57, s19 :: v_dual_cndmask_b32 v14, v16, v44, s19
	v_cmp_eq_u32_e64 s19, 1, v68
	s_delay_alu instid0(VALU_DEP_2) | instskip(SKIP_3) | instid1(VALU_DEP_4)
	v_fmac_f64_e32 v[12:13], v[14:15], v[74:75]
	v_mul_f64_e32 v[14:15], v[70:71], v[78:79]
	v_cndmask_b32_e64 v115, v115, v65, s23
	v_cndmask_b32_e64 v42, v127, v65, s24
	v_dual_cndmask_b32 v111, v111, v65, s21 :: v_dual_cndmask_b32 v104, v104, v12, s21
	s_delay_alu instid0(VALU_DEP_4)
	v_fmac_f64_e32 v[14:15], v[72:73], v[74:75]
	v_dual_cndmask_b32 v48, v48, v12, s7 :: v_dual_cndmask_b32 v146, v10, v12, s8
	v_cndmask_b32_e64 v120, v120, v12, s20
	v_dual_cndmask_b32 v144, v44, v12, vcc_lo :: v_dual_cndmask_b32 v145, v46, v12, s25
	v_dual_cndmask_b32 v57, v57, v13, vcc_lo :: v_dual_cndmask_b32 v59, v59, v13, s25
	v_cndmask_b32_e64 v122, v122, v12, s24
	v_dual_cndmask_b32 v106, v106, v12, s22 :: v_dual_cndmask_b32 v108, v108, v12, s23
	v_cndmask_b32_e64 v49, v49, v13, s7
	v_dual_cndmask_b32 v149, v45, v13, s8 :: v_dual_cndmask_b32 v123, v123, v13, s24
	v_dual_cndmask_b32 v121, v121, v13, s20 :: v_dual_cndmask_b32 v107, v107, v13, s22
	v_cndmask_b32_e64 v105, v105, v13, s21
	v_cndmask_b32_e64 v109, v109, v13, s23
	;; [unrolled: 1-line block ×4, first 2 shown]
	v_dual_cndmask_b32 v75, v11, v15, s8 :: v_dual_cndmask_b32 v79, v128, v14, s20
	v_dual_cndmask_b32 v147, v2, v14, s21 :: v_dual_cndmask_b32 v116, v116, v14, s22
	;; [unrolled: 1-line block ×5, first 2 shown]
	s_delay_alu instid0(VALU_DEP_3) | instskip(NEXT) | instid1(VALU_DEP_3)
	v_dual_cndmask_b32 v3, v118, v116, s10 :: v_dual_cndmask_b32 v74, v47, v15, s7
	v_dual_cndmask_b32 v78, v130, v14, s24 :: v_dual_cndmask_b32 v2, v119, v117, s10
	;; [unrolled: 1-line block ×3, first 2 shown]
	s_delay_alu instid0(VALU_DEP_3) | instskip(NEXT) | instid1(VALU_DEP_3)
	v_dual_cndmask_b32 v3, v3, v147, s17 :: v_dual_cndmask_b32 v54, v54, v14, s7
	v_dual_cndmask_b32 v56, v56, v14, s8 :: v_dual_cndmask_b32 v2, v2, v148, s17
	s_delay_alu instid0(VALU_DEP_3) | instskip(NEXT) | instid1(VALU_DEP_3)
	v_dual_cndmask_b32 v11, v11, v147, s18 :: v_dual_cndmask_b32 v10, v10, v148, s18
	v_dual_cndmask_b32 v3, v3, v79, s16 :: v_dual_cndmask_b32 v50, v50, v14, vcc_lo
	s_delay_alu instid0(VALU_DEP_3) | instskip(NEXT) | instid1(VALU_DEP_3)
	v_dual_cndmask_b32 v52, v52, v14, s25 :: v_dual_cndmask_b32 v2, v2, v129, s16
	v_dual_cndmask_b32 v11, v11, v79, s9 :: v_dual_cndmask_b32 v10, v10, v129, s9
	s_delay_alu instid0(VALU_DEP_3) | instskip(NEXT) | instid1(VALU_DEP_3)
	v_dual_cndmask_b32 v3, v3, v78, s11 :: v_dual_cndmask_b32 v61, v61, v15, vcc_lo
	v_dual_cndmask_b32 v63, v63, v15, s25 :: v_dual_cndmask_b32 v2, v2, v128, s11
	s_delay_alu instid0(VALU_DEP_3) | instskip(NEXT) | instid1(VALU_DEP_3)
	v_cndmask_b32_e64 v11, v11, v78, s2
	v_cndmask_b32_e64 v3, v3, v56, s12
	;; [unrolled: 1-line block ×3, first 2 shown]
	s_delay_alu instid0(VALU_DEP_3) | instskip(NEXT) | instid1(VALU_DEP_2)
	v_dual_cndmask_b32 v2, v2, v75, s12 :: v_dual_cndmask_b32 v11, v11, v56, s3
	v_dual_cndmask_b32 v3, v3, v54, s13 :: v_dual_cndmask_b32 v10, v10, v75, s3
	s_delay_alu instid0(VALU_DEP_1) | instskip(NEXT) | instid1(VALU_DEP_1)
	v_dual_cndmask_b32 v2, v2, v74, s13 :: v_dual_cndmask_b32 v3, v3, v52, s14
	v_dual_cndmask_b32 v11, v11, v54, s4 :: v_dual_cndmask_b32 v2, v2, v63, s14
	s_delay_alu instid0(VALU_DEP_1) | instskip(NEXT) | instid1(VALU_DEP_2)
	v_dual_cndmask_b32 v10, v10, v74, s4 :: v_dual_cndmask_b32 v15, v11, v52, s5
	v_cndmask_b32_e64 v11, v2, v61, s15
	s_delay_alu instid0(VALU_DEP_2) | instskip(NEXT) | instid1(VALU_DEP_1)
	v_dual_cndmask_b32 v14, v10, v63, s5 :: v_dual_cndmask_b32 v10, v3, v50, s15
	v_dual_cndmask_b32 v2, v15, v50, s6 :: v_dual_cndmask_b32 v3, v14, v61, s6
	s_delay_alu instid0(VALU_DEP_2) | instskip(NEXT) | instid1(VALU_DEP_2)
	v_add_f64_e64 v[14:15], -v[10:11], 0
	v_add_f64_e64 v[16:17], v[2:3], -v[10:11]
	s_delay_alu instid0(VALU_DEP_1) | instskip(NEXT) | instid1(VALU_DEP_1)
	v_div_scale_f64 v[18:19], null, v[16:17], v[16:17], v[14:15]
	v_rcp_f64_e32 v[20:21], v[18:19]
	v_nop
	s_delay_alu instid0(TRANS32_DEP_1) | instskip(NEXT) | instid1(VALU_DEP_1)
	v_fma_f64 v[22:23], -v[18:19], v[20:21], 1.0
	v_fmac_f64_e32 v[20:21], v[20:21], v[22:23]
	s_delay_alu instid0(VALU_DEP_1) | instskip(NEXT) | instid1(VALU_DEP_1)
	v_fma_f64 v[22:23], -v[18:19], v[20:21], 1.0
	v_fmac_f64_e32 v[20:21], v[20:21], v[22:23]
	v_div_scale_f64 v[22:23], vcc_lo, v[14:15], v[16:17], v[14:15]
	s_delay_alu instid0(VALU_DEP_1) | instskip(NEXT) | instid1(VALU_DEP_1)
	v_mul_f64_e32 v[24:25], v[22:23], v[20:21]
	v_dual_fma_f64 v[18:19], -v[18:19], v[24:25], v[22:23] :: v_dual_cndmask_b32 v23, v108, v106, s19
	s_delay_alu instid0(VALU_DEP_1) | instskip(NEXT) | instid1(VALU_DEP_2)
	v_cndmask_b32_e64 v23, v23, v104, s18
	v_div_fmas_f64 v[18:19], v[18:19], v[20:21], v[24:25]
	v_dual_cndmask_b32 v20, v77, v143, s10 :: v_dual_cndmask_b32 v25, v108, v106, s10
	v_dual_cndmask_b32 v22, v109, v107, s19 :: v_dual_cndmask_b32 v24, v109, v107, s10
	v_cndmask_b32_e64 v21, v76, v137, s10
	s_delay_alu instid0(VALU_DEP_3) | instskip(NEXT) | instid1(VALU_DEP_3)
	v_dual_cndmask_b32 v20, v20, v142, s17 :: v_dual_cndmask_b32 v25, v25, v104, s17
	v_dual_cndmask_b32 v22, v22, v105, s18 :: v_dual_cndmask_b32 v24, v24, v105, s17
	s_delay_alu instid0(VALU_DEP_3) | instskip(NEXT) | instid1(VALU_DEP_1)
	v_cndmask_b32_e64 v21, v21, v126, s17
	v_cndmask_b32_e64 v21, v21, v124, s16
	v_div_fixup_f64 v[14:15], v[18:19], v[16:17], v[14:15]
	v_cndmask_b32_e64 v16, v115, v113, s10
	v_dual_cndmask_b32 v17, v64, v81, s10 :: v_dual_cndmask_b32 v18, v77, v143, s19
	v_cndmask_b32_e64 v19, v76, v137, s19
	v_dual_cndmask_b32 v12, v12, v111, s18 :: v_dual_cndmask_b32 v13, v13, v80, s18
	s_delay_alu instid0(VALU_DEP_3) | instskip(NEXT) | instid1(VALU_DEP_4)
	v_dual_cndmask_b32 v16, v16, v111, s17 :: v_dual_cndmask_b32 v17, v17, v80, s17
	v_dual_cndmask_b32 v18, v18, v142, s18 :: v_dual_cndmask_b32 v20, v20, v141, s16
	s_delay_alu instid0(VALU_DEP_3) | instskip(NEXT) | instid1(VALU_DEP_2)
	v_dual_cndmask_b32 v19, v19, v126, s18 :: v_dual_cndmask_b32 v44, v12, v125, s9
	v_cndmask_b32_e64 v46, v18, v141, s9
	s_delay_alu instid0(VALU_DEP_3) | instskip(SKIP_1) | instid1(VALU_DEP_2)
	v_dual_cndmask_b32 v17, v17, v69, s16 :: v_dual_cndmask_b32 v18, v20, v140, s11
	v_dual_cndmask_b32 v16, v16, v125, s16 :: v_dual_cndmask_b32 v20, v21, v114, s11
	v_dual_cndmask_b32 v21, v19, v124, s9 :: v_dual_cndmask_b32 v17, v17, v67, s11
	s_delay_alu instid0(VALU_DEP_2) | instskip(NEXT) | instid1(VALU_DEP_3)
	v_dual_cndmask_b32 v45, v13, v69, s9 :: v_dual_cndmask_b32 v16, v16, v42, s11
	v_dual_cndmask_b32 v18, v18, v139, s12 :: v_dual_cndmask_b32 v19, v20, v112, s12
	s_delay_alu instid0(VALU_DEP_2) | instskip(NEXT) | instid1(VALU_DEP_3)
	v_dual_cndmask_b32 v70, v46, v140, s2 :: v_dual_cndmask_b32 v65, v45, v67, s2
	v_dual_cndmask_b32 v16, v16, v55, s12 :: v_dual_cndmask_b32 v17, v17, v58, s12
	s_delay_alu instid0(VALU_DEP_3) | instskip(SKIP_1) | instid1(VALU_DEP_3)
	v_dual_cndmask_b32 v22, v22, v121, s9 :: v_dual_cndmask_b32 v19, v19, v110, s13
	v_cndmask_b32_e64 v20, v24, v121, s16
	v_dual_cndmask_b32 v16, v16, v53, s13 :: v_dual_cndmask_b32 v18, v18, v138, s13
	s_delay_alu instid0(VALU_DEP_4) | instskip(SKIP_1) | instid1(VALU_DEP_3)
	v_cndmask_b32_e64 v17, v17, v60, s13
	v_add_f64_e64 v[12:13], -v[14:15], 1.0
	v_dual_cndmask_b32 v47, v19, v26, s14 :: v_dual_cndmask_b32 v16, v16, v51, s14
	s_delay_alu instid0(VALU_DEP_3) | instskip(NEXT) | instid1(VALU_DEP_2)
	v_dual_cndmask_b32 v18, v18, v27, s14 :: v_dual_cndmask_b32 v24, v17, v62, s14
	v_dual_cndmask_b32 v25, v25, v120, s16 :: v_dual_cndmask_b32 v17, v16, v31, s15
	s_delay_alu instid0(VALU_DEP_2) | instskip(NEXT) | instid1(VALU_DEP_4)
	v_dual_cndmask_b32 v19, v18, v29, s15 :: v_dual_cndmask_b32 v16, v24, v30, s15
	v_dual_cndmask_b32 v18, v47, v28, s15 :: v_dual_cndmask_b32 v24, v44, v42, s2
	s_delay_alu instid0(VALU_DEP_1) | instskip(NEXT) | instid1(VALU_DEP_3)
	v_mul_f64_e32 v[46:47], v[18:19], v[12:13]
	v_mul_f64_e32 v[44:45], v[16:17], v[12:13]
	v_dual_cndmask_b32 v16, v21, v114, s2 :: v_dual_cndmask_b32 v17, v20, v123, s11
	s_delay_alu instid0(VALU_DEP_4)
	v_dual_cndmask_b32 v18, v25, v122, s11 :: v_dual_cndmask_b32 v19, v24, v55, s3
	v_dual_cndmask_b32 v20, v65, v58, s3 :: v_dual_cndmask_b32 v21, v70, v139, s3
	ds_load_b32 v65, v136
	v_dual_cndmask_b32 v16, v16, v112, s3 :: v_dual_cndmask_b32 v17, v17, v149, s12
	v_dual_cndmask_b32 v18, v18, v146, s12 :: v_dual_cndmask_b32 v19, v19, v53, s4
	;; [unrolled: 1-line block ×3, first 2 shown]
	s_delay_alu instid0(VALU_DEP_2) | instskip(NEXT) | instid1(VALU_DEP_3)
	v_dual_cndmask_b32 v17, v17, v49, s13 :: v_dual_cndmask_b32 v18, v18, v48, s13
	v_dual_cndmask_b32 v16, v16, v110, s4 :: v_dual_cndmask_b32 v19, v19, v51, s5
	s_delay_alu instid0(VALU_DEP_2) | instskip(NEXT) | instid1(VALU_DEP_3)
	v_dual_cndmask_b32 v20, v20, v62, s5 :: v_dual_cndmask_b32 v24, v17, v59, s14
	v_dual_cndmask_b32 v18, v18, v145, s14 :: v_dual_cndmask_b32 v21, v21, v27, s5
	s_delay_alu instid0(VALU_DEP_3) | instskip(NEXT) | instid1(VALU_DEP_3)
	v_dual_cndmask_b32 v25, v16, v26, s5 :: v_dual_cndmask_b32 v17, v19, v31, s6
	v_cndmask_b32_e64 v16, v20, v30, s6
	s_delay_alu instid0(VALU_DEP_3) | instskip(NEXT) | instid1(VALU_DEP_4)
	v_dual_cndmask_b32 v19, v24, v57, s15 :: v_dual_cndmask_b32 v18, v18, v144, s15
	v_cndmask_b32_e64 v21, v21, v29, s6
	s_delay_alu instid0(VALU_DEP_4)
	v_cndmask_b32_e64 v20, v25, v28, s6
	s_wait_dscnt 0x0
	v_cmp_eq_u32_e32 vcc_lo, 8, v65
	v_mul_f64_e32 v[72:73], v[10:11], v[12:13]
	v_dual_cndmask_b32 v10, v22, v123, s2 :: v_dual_cndmask_b32 v23, v23, v120, s9
	v_cmp_eq_u32_e64 s7, 2, v65
	v_cmp_eq_u32_e64 s8, 1, v65
	;; [unrolled: 1-line block ×3, first 2 shown]
	s_delay_alu instid0(VALU_DEP_4) | instskip(SKIP_3) | instid1(VALU_DEP_4)
	v_dual_cndmask_b32 v10, v10, v149, s3 :: v_dual_cndmask_b32 v11, v23, v122, s2
	v_cmp_eq_u32_e64 s2, 7, v65
	v_fmac_f64_e32 v[46:47], v[20:21], v[14:15]
	v_mul_f64_e32 v[70:71], v[18:19], v[12:13]
	v_dual_cndmask_b32 v10, v10, v49, s4 :: v_dual_cndmask_b32 v11, v11, v146, s3
	v_cmp_eq_u32_e64 s3, 6, v65
	v_fmac_f64_e32 v[44:45], v[16:17], v[14:15]
	s_delay_alu instid0(VALU_DEP_3) | instskip(SKIP_1) | instid1(VALU_DEP_2)
	v_dual_cndmask_b32 v10, v10, v59, s5 :: v_dual_cndmask_b32 v11, v11, v48, s4
	v_cmp_eq_u32_e64 s4, 5, v65
	v_dual_cndmask_b32 v26, v26, v46, s2 :: v_dual_cndmask_b32 v12, v11, v145, s5
	v_cndmask_b32_e64 v25, v138, v47, s3
	s_delay_alu instid0(VALU_DEP_4) | instskip(SKIP_1) | instid1(VALU_DEP_4)
	v_dual_cndmask_b32 v11, v10, v57, s6 :: v_dual_cndmask_b32 v29, v29, v47, vcc_lo
	v_cndmask_b32_e32 v28, v28, v46, vcc_lo
	v_cndmask_b32_e64 v10, v12, v144, s6
	v_fmac_f64_e32 v[72:73], v[2:3], v[14:15]
	v_lshl_add_u32 v2, v65, 2, v133
	v_cmp_eq_u32_e64 s5, 4, v65
	v_cmp_eq_u32_e64 s6, 3, v65
	v_fmac_f64_e32 v[70:71], v[10:11], v[14:15]
	v_dual_cndmask_b32 v31, v31, v45, vcc_lo :: v_dual_cndmask_b32 v53, v53, v45, s3
	ds_load_b32 v2, v2
	v_dual_cndmask_b32 v51, v51, v45, s2 :: v_dual_cndmask_b32 v24, v110, v46, s3
	v_dual_cndmask_b32 v27, v27, v47, s2 :: v_dual_cndmask_b32 v22, v112, v46, s4
	;; [unrolled: 1-line block ×11, first 2 shown]
	s_wait_dscnt 0x0
	scratch_store_b32 off, v2, off offset:12
	v_dual_cndmask_b32 v124, v69, v44, s6 :: v_dual_cndmask_b32 v110, v80, v44, s7
	v_dual_cndmask_b32 v112, v81, v44, s8 :: v_dual_cndmask_b32 v114, v64, v44, s9
	;; [unrolled: 1-line block ×9, first 2 shown]
	s_wait_xcnt 0x0
	v_dual_cndmask_b32 v3, v148, v73, s7 :: v_dual_cndmask_b32 v2, v147, v72, s7
	v_dual_cndmask_b32 v117, v117, v73, s8 :: v_dual_cndmask_b32 v116, v116, v72, s8
	;; [unrolled: 1-line block ×3, first 2 shown]
	v_dual_mov_b32 v67, v135 :: v_dual_cndmask_b32 v30, v30, v44
	v_dual_cndmask_b32 v62, v62, v44, s2 :: v_dual_cndmask_b32 v60, v60, v44, s3
	v_dual_cndmask_b32 v58, v58, v44, s4 :: v_dual_cndmask_b32 v57, v57, v71, vcc_lo
	v_dual_cndmask_b32 v44, v144, v70, vcc_lo :: v_dual_cndmask_b32 v59, v59, v71, s2
	v_dual_cndmask_b32 v46, v145, v70, s2 :: v_dual_cndmask_b32 v48, v48, v70, s3
	v_dual_cndmask_b32 v49, v49, v71, s3 :: v_dual_cndmask_b32 v10, v146, v70, s4
	v_dual_cndmask_b32 v45, v149, v71, s4 :: v_dual_cndmask_b32 v50, v50, v72, vcc_lo
	v_dual_cndmask_b32 v61, v61, v73, vcc_lo :: v_dual_cndmask_b32 v63, v63, v73, s2
	v_dual_cndmask_b32 v52, v52, v72, s2 :: v_dual_cndmask_b32 v47, v74, v73, s3
	v_dual_cndmask_b32 v54, v54, v72, s3 :: v_dual_cndmask_b32 v11, v75, v73, s4
	v_cndmask_b32_e64 v56, v56, v72, s4
.LBB0_99:
	s_or_b32 exec_lo, exec_lo, s31
	scratch_store_b32 off, v66, off offset:8
	s_wait_xcnt 0x0
	s_and_saveexec_b32 s2, s0
	s_cbranch_execz .LBB0_108
; %bb.100:
	s_mov_b32 s3, 0
	s_branch .LBB0_102
.LBB0_101:                              ;   in Loop: Header=BB0_102 Depth=1
	s_wait_xcnt 0x0
	s_or_b32 exec_lo, exec_lo, s4
	s_wait_dscnt 0x0
	v_cmp_gt_i32_e32 vcc_lo, 0, v42
	v_mov_b32_e32 v134, v42
	s_or_b32 s3, vcc_lo, s3
	s_delay_alu instid0(SALU_CYCLE_1)
	s_and_not1_b32 exec_lo, exec_lo, s3
	s_cbranch_execz .LBB0_108
.LBB0_102:                              ; =>This Inner Loop Header: Depth=1
	s_delay_alu instid0(VALU_DEP_1) | instskip(SKIP_4) | instid1(VALU_DEP_2)
	v_cmp_eq_u32_e32 vcc_lo, 1, v134
	v_cmp_eq_u32_e64 s0, 2, v134
	s_mov_b32 s4, exec_lo
	v_dual_cndmask_b32 v42, v119, v117, vcc_lo :: v_dual_cndmask_b32 v64, v118, v116, vcc_lo
	v_cmp_eq_u32_e32 vcc_lo, 3, v134
	v_dual_cndmask_b32 v42, v42, v3, s0 :: v_dual_cndmask_b32 v64, v64, v2, s0
	s_mov_b32 s0, 0
	s_delay_alu instid0(VALU_DEP_1) | instskip(SKIP_1) | instid1(VALU_DEP_2)
	v_dual_cndmask_b32 v42, v42, v129, vcc_lo :: v_dual_cndmask_b32 v64, v64, v128, vcc_lo
	v_cmp_eq_u32_e32 vcc_lo, 4, v134
	v_dual_cndmask_b32 v42, v42, v131, vcc_lo :: v_dual_cndmask_b32 v64, v64, v130, vcc_lo
	v_cmp_eq_u32_e32 vcc_lo, 5, v134
	s_delay_alu instid0(VALU_DEP_2) | instskip(SKIP_1) | instid1(VALU_DEP_2)
	v_dual_cndmask_b32 v42, v42, v11, vcc_lo :: v_dual_cndmask_b32 v64, v64, v56, vcc_lo
	v_cmp_eq_u32_e32 vcc_lo, 6, v134
	v_dual_cndmask_b32 v42, v42, v47, vcc_lo :: v_dual_cndmask_b32 v64, v64, v54, vcc_lo
	v_cmp_eq_u32_e32 vcc_lo, 7, v134
	s_delay_alu instid0(VALU_DEP_2) | instskip(SKIP_1) | instid1(VALU_DEP_2)
	v_dual_cndmask_b32 v42, v42, v63, vcc_lo :: v_dual_cndmask_b32 v64, v64, v52, vcc_lo
	v_cmp_eq_u32_e32 vcc_lo, 8, v134
	v_dual_cndmask_b32 v71, v42, v61 :: v_dual_cndmask_b32 v70, v64, v50
	v_lshl_add_u32 v64, v134, 2, v133
	ds_load_b32 v42, v64
	v_cmpx_ngt_f64_e32 0, v[70:71]
	s_xor_b32 s4, exec_lo, s4
	s_cbranch_execnz .LBB0_105
; %bb.103:                              ;   in Loop: Header=BB0_102 Depth=1
	s_or_saveexec_b32 s4, s4
	v_mov_b32_e32 v66, 8
	s_xor_b32 exec_lo, exec_lo, s4
	s_cbranch_execnz .LBB0_106
.LBB0_104:                              ;   in Loop: Header=BB0_102 Depth=1
	s_or_b32 exec_lo, exec_lo, s4
	s_and_saveexec_b32 s4, s0
	s_cbranch_execz .LBB0_101
	s_branch .LBB0_107
.LBB0_105:                              ;   in Loop: Header=BB0_102 Depth=1
	scratch_load_b32 v64, off, off offset:8
	s_wait_loadcnt 0x0
	v_cmp_eq_u32_e32 vcc_lo, -1, v64
                                        ; implicit-def: $vgpr64
	s_and_b32 s0, vcc_lo, exec_lo
	s_wait_xcnt 0x0
	s_or_saveexec_b32 s4, s4
	v_mov_b32_e32 v66, 8
	s_xor_b32 exec_lo, exec_lo, s4
	s_cbranch_execz .LBB0_104
.LBB0_106:                              ;   in Loop: Header=BB0_102 Depth=1
	scratch_load_b32 v69, off, off offset:12
	v_mov_b32_e32 v66, 12
	s_or_b32 s0, s0, exec_lo
	s_wait_loadcnt 0x0
	ds_store_b32 v64, v69
	s_wait_xcnt 0x0
	s_or_b32 exec_lo, exec_lo, s4
	s_and_saveexec_b32 s4, s0
	s_cbranch_execz .LBB0_101
.LBB0_107:                              ;   in Loop: Header=BB0_102 Depth=1
	scratch_store_b32 v66, v134, off
	s_branch .LBB0_101
.LBB0_108:
	s_or_b32 exec_lo, exec_lo, s2
	s_and_saveexec_b32 s0, s1
	s_cbranch_execz .LBB0_110
; %bb.109:
	v_max_num_f64_e32 v[2:3], v[38:39], v[38:39]
	v_max_num_f64_e32 v[38:39], v[40:41], v[40:41]
	v_lshl_add_u32 v11, v43, 2, v133
	s_delay_alu instid0(VALU_DEP_2) | instskip(SKIP_1) | instid1(VALU_DEP_2)
	v_min_num_f64_e32 v[2:3], v[38:39], v[2:3]
	v_lshl_add_u32 v38, v67, 2, v133
	v_cmp_ngt_f64_e32 vcc_lo, 0, v[2:3]
	v_lshl_add_u32 v3, v65, 2, v133
	v_cndmask_b32_e32 v2, -1, v68, vcc_lo
	ds_store_b32 v11, v67
	ds_store_b32 v38, v65
	;; [unrolled: 1-line block ×3, first 2 shown]
.LBB0_110:
	s_or_b32 exec_lo, exec_lo, s0
	scratch_load_b32 v2, off, off offset:8
	s_mov_b32 s8, exec_lo
	s_wait_loadcnt 0x0
	v_cmpx_lt_i32_e32 -1, v2
	s_cbranch_execz .LBB0_114
; %bb.111:
	v_mov_b32_e32 v3, v2
	s_mov_b32 s9, 0
.LBB0_112:                              ; =>This Inner Loop Header: Depth=1
	s_delay_alu instid0(VALU_DEP_1)
	v_cmp_eq_u32_e32 vcc_lo, 1, v3
	v_cmp_eq_u32_e64 s0, 2, v3
	v_cmp_eq_u32_e64 s1, 3, v3
	;; [unrolled: 1-line block ×4, first 2 shown]
	v_dual_cndmask_b32 v11, v115, v113 :: v_dual_cndmask_b32 v38, v114, v112
	v_cmp_eq_u32_e64 s4, 6, v3
	v_cmp_eq_u32_e64 s5, 7, v3
	;; [unrolled: 1-line block ×3, first 2 shown]
	s_delay_alu instid0(VALU_DEP_4) | instskip(SKIP_2) | instid1(VALU_DEP_3)
	v_dual_cndmask_b32 v11, v11, v111, s0 :: v_dual_cndmask_b32 v38, v38, v110, s0
	v_cmp_eq_u32_e64 s7, 0, v3
	v_lshl_add_u32 v3, v3, 2, v133
	v_dual_cndmask_b32 v40, v12, v14, vcc_lo :: v_dual_cndmask_b32 v11, v11, v125, s1
	s_delay_alu instid0(VALU_DEP_4) | instskip(SKIP_3) | instid1(VALU_DEP_2)
	v_cndmask_b32_e64 v38, v38, v124, s1
	ds_load_b32 v3, v3
	v_dual_cndmask_b32 v40, v40, v16, s0 :: v_dual_cndmask_b32 v11, v11, v127, s2
	v_cndmask_b32_e64 v38, v38, v126, s2
	v_dual_cndmask_b32 v40, v40, v18, s1 :: v_dual_cndmask_b32 v11, v11, v55, s3
	s_delay_alu instid0(VALU_DEP_1) | instskip(NEXT) | instid1(VALU_DEP_1)
	v_dual_cndmask_b32 v38, v38, v58, s3 :: v_dual_cndmask_b32 v40, v40, v20, s2
	v_dual_cndmask_b32 v11, v11, v53, s4 :: v_dual_cndmask_b32 v38, v38, v60, s4
	s_delay_alu instid0(VALU_DEP_1) | instskip(NEXT) | instid1(VALU_DEP_1)
	v_dual_cndmask_b32 v40, v40, v22, s3 :: v_dual_cndmask_b32 v11, v11, v51, s5
	v_dual_cndmask_b32 v38, v38, v62, s5 :: v_dual_cndmask_b32 v40, v40, v24, s4
	s_delay_alu instid0(VALU_DEP_1) | instskip(NEXT) | instid1(VALU_DEP_2)
	v_dual_cndmask_b32 v39, v11, v31, s6 :: v_dual_cndmask_b32 v38, v38, v30, s6
	v_dual_cndmask_b32 v11, v13, v15, vcc_lo :: v_dual_cndmask_b32 v40, v40, v26, s5
	s_delay_alu instid0(VALU_DEP_2) | instskip(NEXT) | instid1(VALU_DEP_2)
	v_add_f64_e64 v[38:39], -v[38:39], 1.0
	v_dual_cndmask_b32 v11, v11, v17, s0 :: v_dual_cndmask_b32 v40, v40, v28, s6
	s_delay_alu instid0(VALU_DEP_1) | instskip(NEXT) | instid1(VALU_DEP_1)
	v_cndmask_b32_e64 v11, v11, v19, s1
	v_cndmask_b32_e64 v11, v11, v21, s2
	s_delay_alu instid0(VALU_DEP_1) | instskip(NEXT) | instid1(VALU_DEP_1)
	v_cndmask_b32_e64 v11, v11, v23, s3
	v_cndmask_b32_e64 v11, v11, v25, s4
	;; [unrolled: 3-line block ×3, first 2 shown]
	s_delay_alu instid0(VALU_DEP_1) | instskip(NEXT) | instid1(VALU_DEP_1)
	v_add_f64_e64 v[38:39], v[38:39], -v[40:41]
	v_dual_cndmask_b32 v107, v107, v39 :: v_dual_cndmask_b32 v106, v106, v38
	s_wait_dscnt 0x0
	v_cmp_gt_i32_e32 vcc_lo, 0, v3
	v_dual_cndmask_b32 v57, v57, v39, s6 :: v_dual_cndmask_b32 v44, v44, v38, s6
	v_dual_cndmask_b32 v59, v59, v39, s5 :: v_dual_cndmask_b32 v46, v46, v38, s5
	;; [unrolled: 1-line block ×8, first 2 shown]
	s_or_b32 s9, vcc_lo, s9
	s_delay_alu instid0(SALU_CYCLE_1)
	s_and_not1_b32 exec_lo, exec_lo, s9
	s_cbranch_execnz .LBB0_112
; %bb.113:
	s_or_b32 exec_lo, exec_lo, s9
.LBB0_114:
	s_delay_alu instid0(SALU_CYCLE_1) | instskip(NEXT) | instid1(SALU_CYCLE_1)
	s_or_b32 exec_lo, exec_lo, s8
	s_mov_b32 s7, exec_lo
	v_cmpx_lt_i32_e32 -1, v2
	s_cbranch_execz .LBB0_120
; %bb.115:
	v_lshl_add_u32 v3, v2, 2, v133
	s_mov_b32 s8, exec_lo
	ds_load_b32 v42, v3
	s_wait_dscnt 0x0
	v_lshl_add_u32 v3, v42, 2, v133
	ds_load_b32 v11, v3
	s_wait_dscnt 0x0
	v_cmpx_lt_i32_e32 -1, v11
	s_cbranch_execz .LBB0_119
; %bb.116:
	v_cmp_eq_u32_e32 vcc_lo, 1, v2
	v_cmp_eq_u32_e64 s0, 2, v2
	v_cmp_eq_u32_e64 s1, 3, v2
	;; [unrolled: 1-line block ×4, first 2 shown]
	v_dual_cndmask_b32 v38, v13, v15 :: v_dual_cndmask_b32 v39, v12, v14
	v_cmp_eq_u32_e64 s4, 6, v2
	v_cmp_eq_u32_e64 s5, 7, v2
	;; [unrolled: 1-line block ×3, first 2 shown]
	s_delay_alu instid0(VALU_DEP_4) | instskip(SKIP_2) | instid1(VALU_DEP_2)
	v_dual_cndmask_b32 v38, v38, v17, s0 :: v_dual_cndmask_b32 v39, v39, v16, s0
	v_dual_cndmask_b32 v3, v115, v113 :: v_dual_cndmask_b32 v2, v114, v112
	s_mov_b32 s9, 0
	v_dual_cndmask_b32 v38, v38, v19, s1 :: v_dual_cndmask_b32 v39, v39, v18, s1
	s_delay_alu instid0(VALU_DEP_2) | instskip(NEXT) | instid1(VALU_DEP_2)
	v_dual_cndmask_b32 v3, v3, v111, s0 :: v_dual_cndmask_b32 v2, v2, v110, s0
	v_dual_cndmask_b32 v41, v108, v106, vcc_lo :: v_dual_cndmask_b32 v38, v38, v21, s2
	s_delay_alu instid0(VALU_DEP_3) | instskip(NEXT) | instid1(VALU_DEP_3)
	v_cndmask_b32_e64 v39, v39, v20, s2
	v_dual_cndmask_b32 v3, v3, v125, s1 :: v_dual_cndmask_b32 v2, v2, v124, s1
	s_delay_alu instid0(VALU_DEP_3) | instskip(NEXT) | instid1(VALU_DEP_3)
	v_dual_cndmask_b32 v41, v41, v104, s0 :: v_dual_cndmask_b32 v38, v38, v23, s3
	v_cndmask_b32_e64 v39, v39, v22, s3
	s_delay_alu instid0(VALU_DEP_3) | instskip(NEXT) | instid1(VALU_DEP_3)
	v_dual_cndmask_b32 v3, v3, v127, s2 :: v_dual_cndmask_b32 v2, v2, v126, s2
	v_dual_cndmask_b32 v41, v41, v120, s1 :: v_dual_cndmask_b32 v38, v38, v25, s4
	s_delay_alu instid0(VALU_DEP_3) | instskip(NEXT) | instid1(VALU_DEP_3)
	v_cndmask_b32_e64 v39, v39, v24, s4
	v_dual_cndmask_b32 v3, v3, v55, s3 :: v_dual_cndmask_b32 v2, v2, v58, s3
	s_delay_alu instid0(VALU_DEP_3) | instskip(NEXT) | instid1(VALU_DEP_3)
	v_dual_cndmask_b32 v41, v41, v122, s2 :: v_dual_cndmask_b32 v38, v38, v27, s5
	v_cndmask_b32_e64 v40, v39, v26, s5
	s_delay_alu instid0(VALU_DEP_3) | instskip(NEXT) | instid1(VALU_DEP_3)
	v_dual_cndmask_b32 v3, v3, v53, s4 :: v_dual_cndmask_b32 v2, v2, v60, s4
	v_dual_cndmask_b32 v41, v41, v10, s3 :: v_dual_cndmask_b32 v39, v38, v29, s6
	s_delay_alu instid0(VALU_DEP_3) | instskip(SKIP_1) | instid1(VALU_DEP_4)
	v_dual_cndmask_b32 v38, v40, v28, s6 :: v_dual_cndmask_b32 v40, v109, v107, vcc_lo
	v_cmp_eq_u32_e32 vcc_lo, 1, v42
	v_dual_cndmask_b32 v3, v3, v51, s5 :: v_dual_cndmask_b32 v2, v2, v62, s5
	s_delay_alu instid0(VALU_DEP_3) | instskip(SKIP_2) | instid1(VALU_DEP_4)
	v_dual_cndmask_b32 v41, v41, v48, s4 :: v_dual_cndmask_b32 v40, v40, v105, s0
	v_cmp_eq_u32_e64 s0, 2, v42
	v_dual_cndmask_b32 v47, v115, v113 :: v_dual_cndmask_b32 v50, v114, v112
	v_dual_cndmask_b32 v3, v3, v31, s6 :: v_dual_cndmask_b32 v2, v2, v30, s6
	s_delay_alu instid0(VALU_DEP_4) | instskip(SKIP_1) | instid1(VALU_DEP_4)
	v_cndmask_b32_e64 v40, v40, v121, s1
	v_cmp_eq_u32_e64 s1, 3, v42
	v_dual_cndmask_b32 v47, v47, v111, s0 :: v_dual_cndmask_b32 v50, v50, v110, s0
	s_delay_alu instid0(VALU_DEP_3) | instskip(SKIP_1) | instid1(VALU_DEP_3)
	v_dual_cndmask_b32 v43, v41, v46, s5 :: v_dual_cndmask_b32 v40, v40, v123, s2
	v_cmp_eq_u32_e64 s2, 4, v42
	v_dual_cndmask_b32 v47, v47, v125, s1 :: v_dual_cndmask_b32 v50, v50, v124, s1
	s_delay_alu instid0(VALU_DEP_3) | instskip(SKIP_1) | instid1(VALU_DEP_3)
	v_cndmask_b32_e64 v40, v40, v45, s3
	v_cmp_eq_u32_e64 s3, 5, v42
	v_dual_cndmask_b32 v47, v47, v127, s2 :: v_dual_cndmask_b32 v50, v50, v126, s2
	s_delay_alu instid0(VALU_DEP_3) | instskip(SKIP_1) | instid1(VALU_DEP_3)
	v_cndmask_b32_e64 v40, v40, v49, s4
	;; [unrolled: 4-line block ×3, first 2 shown]
	v_cmp_eq_u32_e64 s5, 7, v42
	v_dual_cndmask_b32 v47, v47, v53, s4 :: v_dual_cndmask_b32 v50, v50, v60, s4
	s_delay_alu instid0(VALU_DEP_3) | instskip(SKIP_2) | instid1(VALU_DEP_4)
	v_dual_cndmask_b32 v41, v40, v57, s6 :: v_dual_cndmask_b32 v40, v43, v44, s6
	v_cndmask_b32_e32 v43, v13, v15, vcc_lo
	v_cmp_eq_u32_e64 s6, 8, v42
	v_dual_cndmask_b32 v42, v12, v14, vcc_lo :: v_dual_cndmask_b32 v47, v47, v51, s5
	s_delay_alu instid0(VALU_DEP_3) | instskip(SKIP_1) | instid1(VALU_DEP_3)
	v_dual_cndmask_b32 v50, v50, v62, s5 :: v_dual_cndmask_b32 v43, v43, v17, s0
	v_mul_f64_e32 v[64:65], v[2:3], v[40:41]
	v_dual_cndmask_b32 v42, v42, v16, s0 :: v_dual_cndmask_b32 v71, v47, v31, s6
	s_delay_alu instid0(VALU_DEP_3) | instskip(SKIP_1) | instid1(VALU_DEP_3)
	v_dual_cndmask_b32 v70, v50, v30, s6 :: v_dual_cndmask_b32 v43, v43, v19, s1
	v_dual_cndmask_b32 v47, v109, v107 :: v_dual_cndmask_b32 v50, v108, v106
	v_cndmask_b32_e64 v42, v42, v18, s1
	s_delay_alu instid0(VALU_DEP_3) | instskip(NEXT) | instid1(VALU_DEP_4)
	v_add_f64_e64 v[74:75], v[70:71], -v[2:3]
	v_cndmask_b32_e64 v43, v43, v21, s2
	s_delay_alu instid0(VALU_DEP_4) | instskip(NEXT) | instid1(VALU_DEP_4)
	v_dual_cndmask_b32 v47, v47, v105, s0 :: v_dual_cndmask_b32 v50, v50, v104, s0
	v_cndmask_b32_e64 v42, v42, v20, s2
	v_mul_f64_e32 v[66:67], v[38:39], v[40:41]
	s_delay_alu instid0(VALU_DEP_4) | instskip(NEXT) | instid1(VALU_DEP_4)
	v_dual_mul_f64 v[68:69], v[40:41], v[40:41] :: v_dual_cndmask_b32 v43, v43, v23, s3
	v_dual_cndmask_b32 v47, v47, v121, s1 :: v_dual_cndmask_b32 v50, v50, v120, s1
	s_delay_alu instid0(VALU_DEP_2) | instskip(NEXT) | instid1(VALU_DEP_2)
	v_dual_cndmask_b32 v42, v42, v22, s3 :: v_dual_cndmask_b32 v43, v43, v25, s4
	v_dual_cndmask_b32 v47, v47, v123, s2 :: v_dual_cndmask_b32 v50, v50, v122, s2
	s_delay_alu instid0(VALU_DEP_2) | instskip(NEXT) | instid1(VALU_DEP_2)
	v_dual_cndmask_b32 v42, v42, v24, s4 :: v_dual_cndmask_b32 v43, v43, v27, s5
	;; [unrolled: 3-line block ×3, first 2 shown]
	v_dual_cndmask_b32 v47, v47, v49, s4 :: v_dual_cndmask_b32 v50, v50, v48, s4
	s_delay_alu instid0(VALU_DEP_1) | instskip(NEXT) | instid1(VALU_DEP_2)
	v_dual_cndmask_b32 v42, v42, v28, s6 :: v_dual_cndmask_b32 v47, v47, v59, s5
	v_cndmask_b32_e64 v50, v50, v46, s5
	s_delay_alu instid0(VALU_DEP_2) | instskip(NEXT) | instid1(VALU_DEP_2)
	v_add_f64_e64 v[76:77], v[42:43], -v[38:39]
	v_dual_cndmask_b32 v73, v47, v57, s6 :: v_dual_cndmask_b32 v72, v50, v44, s6
.LBB0_117:                              ; =>This Inner Loop Header: Depth=1
	v_cmp_eq_u32_e32 vcc_lo, 1, v11
	v_cmp_eq_u32_e64 s0, 2, v11
	v_cmp_eq_u32_e64 s1, 3, v11
	;; [unrolled: 1-line block ×4, first 2 shown]
	v_dual_cndmask_b32 v47, v115, v113 :: v_dual_cndmask_b32 v50, v114, v112
	v_cmp_eq_u32_e64 s4, 6, v11
	v_cmp_eq_u32_e64 s5, 7, v11
	;; [unrolled: 1-line block ×3, first 2 shown]
	s_delay_alu instid0(VALU_DEP_4) | instskip(SKIP_3) | instid1(VALU_DEP_4)
	v_dual_cndmask_b32 v47, v47, v111, s0 :: v_dual_cndmask_b32 v50, v50, v110, s0
	v_add_f64_e32 v[134:135], v[40:41], v[72:73]
	v_lshl_add_u32 v11, v11, 2, v133
	v_fma_f64 v[130:131], v[72:73], v[72:73], v[68:69]
	v_dual_cndmask_b32 v47, v47, v125, s1 :: v_dual_cndmask_b32 v50, v50, v124, s1
	ds_load_b32 v11, v11
	v_dual_cndmask_b32 v47, v47, v127, s2 :: v_dual_cndmask_b32 v50, v50, v126, s2
	s_delay_alu instid0(VALU_DEP_1) | instskip(NEXT) | instid1(VALU_DEP_1)
	v_dual_cndmask_b32 v47, v47, v55, s3 :: v_dual_cndmask_b32 v50, v50, v58, s3
	v_dual_cndmask_b32 v47, v47, v53, s4 :: v_dual_cndmask_b32 v50, v50, v60, s4
	s_delay_alu instid0(VALU_DEP_1) | instskip(NEXT) | instid1(VALU_DEP_1)
	v_dual_cndmask_b32 v47, v47, v51, s5 :: v_dual_cndmask_b32 v50, v50, v62, s5
	v_dual_cndmask_b32 v79, v47, v31, s6 :: v_dual_cndmask_b32 v78, v50, v30, s6
	v_dual_cndmask_b32 v47, v13, v15 :: v_dual_cndmask_b32 v50, v12, v14
	s_delay_alu instid0(VALU_DEP_2) | instskip(NEXT) | instid1(VALU_DEP_2)
	v_add_f64_e64 v[116:117], v[78:79], -v[2:3]
	v_dual_cndmask_b32 v47, v47, v17, s0 :: v_dual_cndmask_b32 v50, v50, v16, s0
	s_delay_alu instid0(VALU_DEP_1) | instskip(NEXT) | instid1(VALU_DEP_1)
	v_dual_cndmask_b32 v47, v47, v19, s1 :: v_dual_cndmask_b32 v50, v50, v18, s1
	v_dual_cndmask_b32 v47, v47, v21, s2 :: v_dual_cndmask_b32 v50, v50, v20, s2
	s_delay_alu instid0(VALU_DEP_1) | instskip(NEXT) | instid1(VALU_DEP_1)
	v_dual_cndmask_b32 v47, v47, v23, s3 :: v_dual_cndmask_b32 v50, v50, v22, s3
	;; [unrolled: 3-line block ×3, first 2 shown]
	v_dual_cndmask_b32 v81, v47, v29, s6 :: v_dual_cndmask_b32 v80, v50, v28, s6
	v_dual_cndmask_b32 v47, v109, v107 :: v_dual_cndmask_b32 v50, v108, v106
	s_wait_dscnt 0x0
	v_cmp_gt_i32_e32 vcc_lo, 0, v11
	s_delay_alu instid0(VALU_DEP_2) | instskip(NEXT) | instid1(VALU_DEP_3)
	v_dual_add_f64 v[118:119], v[80:81], -v[38:39] :: v_dual_cndmask_b32 v47, v47, v105, s0
	v_cndmask_b32_e64 v50, v50, v104, s0
	s_or_b32 s9, vcc_lo, s9
	s_delay_alu instid0(VALU_DEP_2) | instskip(NEXT) | instid1(VALU_DEP_1)
	v_cndmask_b32_e64 v47, v47, v121, s1
	v_dual_mul_f64 v[76:77], v[116:117], v[76:77] :: v_dual_cndmask_b32 v47, v47, v123, s2
	s_delay_alu instid0(VALU_DEP_1) | instskip(NEXT) | instid1(VALU_DEP_1)
	v_dual_cndmask_b32 v50, v50, v120, s1 :: v_dual_cndmask_b32 v47, v47, v45, s3
	v_dual_cndmask_b32 v50, v50, v122, s2 :: v_dual_cndmask_b32 v47, v47, v49, s4
	s_delay_alu instid0(VALU_DEP_1) | instskip(NEXT) | instid1(VALU_DEP_1)
	v_dual_cndmask_b32 v50, v50, v10, s3 :: v_dual_cndmask_b32 v47, v47, v59, s5
	v_dual_cndmask_b32 v50, v50, v48, s4 :: v_dual_cndmask_b32 v129, v47, v57, s6
	s_delay_alu instid0(VALU_DEP_1) | instskip(SKIP_2) | instid1(VALU_DEP_3)
	v_cndmask_b32_e64 v50, v50, v46, s5
	v_fma_f64 v[74:75], v[118:119], v[74:75], -v[76:77]
	v_add_f64_e32 v[76:77], v[2:3], v[70:71]
	v_cndmask_b32_e64 v128, v50, v44, s6
	v_fma_f64 v[70:71], v[70:71], v[72:73], v[64:65]
	s_delay_alu instid0(VALU_DEP_3) | instskip(NEXT) | instid1(VALU_DEP_3)
	v_add_f64_e32 v[76:77], v[76:77], v[78:79]
	v_fmac_f64_e32 v[130:131], v[128:129], v[128:129]
	v_add_f64_e32 v[134:135], v[128:129], v[134:135]
	s_delay_alu instid0(VALU_DEP_4) | instskip(NEXT) | instid1(VALU_DEP_3)
	v_fmac_f64_e32 v[70:71], v[128:129], v[78:79]
	v_fmac_f64_e32 v[130:131], v[40:41], v[72:73]
	s_delay_alu instid0(VALU_DEP_3) | instskip(SKIP_1) | instid1(VALU_DEP_3)
	v_mul_f64_e32 v[136:137], v[134:135], v[74:75]
	v_fmac_f64_e32 v[34:35], v[134:135], v[74:75]
	v_fmac_f64_e32 v[130:131], v[40:41], v[128:129]
	s_delay_alu instid0(VALU_DEP_3) | instskip(NEXT) | instid1(VALU_DEP_2)
	v_mul_f64_e32 v[76:77], v[76:77], v[136:137]
	v_fmac_f64_e32 v[130:131], v[128:129], v[72:73]
	v_fma_f64 v[72:73], v[42:43], v[72:73], v[66:67]
	v_add_f64_e32 v[42:43], v[38:39], v[42:43]
	s_delay_alu instid0(VALU_DEP_4)
	v_fmac_f64_e32 v[76:77], v[70:71], v[74:75]
	v_mov_b64_e32 v[70:71], v[78:79]
	v_fmac_f64_e32 v[0:1], v[74:75], v[130:131]
	v_fmac_f64_e32 v[72:73], v[80:81], v[128:129]
	v_add_f64_e32 v[42:43], v[80:81], v[42:43]
	v_add_f64_e32 v[36:37], v[36:37], v[76:77]
	v_mov_b64_e32 v[76:77], v[118:119]
	s_delay_alu instid0(VALU_DEP_3) | instskip(NEXT) | instid1(VALU_DEP_1)
	v_mul_f64_e32 v[42:43], v[42:43], v[136:137]
	v_fmac_f64_e32 v[42:43], v[72:73], v[74:75]
	v_mov_b64_e32 v[74:75], v[116:117]
	v_mov_b64_e32 v[72:73], v[128:129]
	s_delay_alu instid0(VALU_DEP_3)
	v_add_f64_e32 v[32:33], v[32:33], v[42:43]
	v_mov_b64_e32 v[42:43], v[80:81]
	s_and_not1_b32 exec_lo, exec_lo, s9
	s_cbranch_execnz .LBB0_117
; %bb.118:
	s_or_b32 exec_lo, exec_lo, s9
.LBB0_119:
	s_delay_alu instid0(SALU_CYCLE_1)
	s_or_b32 exec_lo, exec_lo, s8
.LBB0_120:
	s_delay_alu instid0(SALU_CYCLE_1) | instskip(SKIP_2) | instid1(VALU_DEP_4)
	s_or_b32 exec_lo, exec_lo, s7
	v_mul_f64_e32 v[2:3], 0x3fa5555555555555, v[36:37]
	v_mul_f64_e32 v[10:11], 0x3fc5555555555555, v[34:35]
	;; [unrolled: 1-line block ×4, first 2 shown]
	s_delay_alu instid0(VALU_DEP_4) | instskip(SKIP_3) | instid1(VALU_DEP_4)
	v_mul_f64_e32 v[12:13], v[98:99], v[2:3]
	v_mul_f64_e32 v[14:15], v[100:101], v[2:3]
	v_mul_f64_e32 v[2:3], v[96:97], v[2:3]
	v_fma_f64 v[22:23], v[102:103], v[10:11], 0
	v_fmac_f64_e32 v[12:13], v[84:85], v[10:11]
	s_delay_alu instid0(VALU_DEP_4) | instskip(NEXT) | instid1(VALU_DEP_4)
	v_fmac_f64_e32 v[14:15], v[8:9], v[10:11]
	v_fmac_f64_e32 v[2:3], v[4:5], v[10:11]
	s_delay_alu instid0(VALU_DEP_3) | instskip(NEXT) | instid1(VALU_DEP_3)
	v_fmac_f64_e32 v[12:13], v[94:95], v[16:17]
	v_fmac_f64_e32 v[14:15], v[92:93], v[16:17]
	s_delay_alu instid0(VALU_DEP_3) | instskip(NEXT) | instid1(VALU_DEP_3)
	;; [unrolled: 3-line block ×4, first 2 shown]
	v_fma_f64 v[16:17], v[102:103], v[12:13], 0
	v_fma_f64 v[20:21], v[102:103], v[14:15], 0
	s_delay_alu instid0(VALU_DEP_3)
	v_fma_f64 v[18:19], v[102:103], v[2:3], 0
.LBB0_121:
	s_or_b32 exec_lo, exec_lo, s30
	v_mul_u64_e32 v[10:11], 0x48, v[82:83]
	v_mov_b64_e32 v[2:3], 0
	v_mov_b64_e32 v[0:1], v[22:23]
	;; [unrolled: 1-line block ×7, first 2 shown]
	v_cmp_lt_u64_e32 vcc_lo, s[28:29], v[10:11]
	v_mov_b64_e32 v[10:11], v[20:21]
	s_and_saveexec_b32 s0, vcc_lo
	s_cbranch_execz .LBB0_123
; %bb.122:
	v_mov_b64_e32 v[0:1], 0
	v_mov_b64_e32 v[4:5], 0
	v_mov_b64_e32 v[10:11], 0
	v_mov_b64_e32 v[12:13], 0
	v_mov_b64_e32 v[2:3], v[18:19]
	v_mov_b64_e32 v[6:7], v[20:21]
	v_mov_b64_e32 v[8:9], v[16:17]
	v_mov_b64_e32 v[14:15], v[22:23]
.LBB0_123:
	s_or_b32 exec_lo, exec_lo, s0
	v_mbcnt_lo_u32_b32 v16, -1, 0
	s_mov_b64 s[0:1], 1
	s_wait_storecnt_dscnt 0x0
	s_barrier_signal -1
	s_barrier_wait -1
.LBB0_124:                              ; =>This Inner Loop Header: Depth=1
	v_xor_b32_e32 v17, s0, v16
	v_cmp_gt_u64_e64 s2, s[0:1], 31
	s_lshl_b64 s[0:1], s[0:1], 1
	v_cmp_gt_i32_e32 vcc_lo, 32, v17
	v_cndmask_b32_e32 v17, v16, v17, vcc_lo
	s_and_b32 vcc_lo, exec_lo, s2
	s_delay_alu instid0(VALU_DEP_1)
	v_lshlrev_b32_e32 v17, 2, v17
	ds_bpermute_b32 v26, v17, v0
	ds_bpermute_b32 v27, v17, v1
	s_wait_dscnt 0x0
	v_add_f64_e32 v[0:1], v[0:1], v[26:27]
	ds_bpermute_b32 v18, v17, v14
	ds_bpermute_b32 v19, v17, v15
	;; [unrolled: 1-line block ×14, first 2 shown]
	s_wait_dscnt 0xc
	v_add_f64_e32 v[14:15], v[14:15], v[18:19]
	s_wait_dscnt 0xa
	v_add_f64_e32 v[8:9], v[8:9], v[20:21]
	s_wait_dscnt 0x8
	v_add_f64_e32 v[6:7], v[6:7], v[22:23]
	s_wait_dscnt 0x6
	v_add_f64_e32 v[2:3], v[2:3], v[24:25]
	s_wait_dscnt 0x4
	v_add_f64_e32 v[4:5], v[4:5], v[28:29]
	s_wait_dscnt 0x2
	v_add_f64_e32 v[10:11], v[10:11], v[30:31]
	s_wait_dscnt 0x0
	v_add_f64_e32 v[12:13], v[12:13], v[32:33]
	s_cbranch_vccz .LBB0_124
; %bb.125:
	v_and_b32_e32 v16, 63, v132
	s_mov_b32 s0, exec_lo
	s_delay_alu instid0(VALU_DEP_1)
	v_cmpx_eq_u32_e32 0, v16
	s_cbranch_execz .LBB0_127
; %bb.126:
	v_lshrrev_b32_e32 v16, 3, v132
	ds_store_2addr_b64 v16, v[0:1], v[4:5] offset1:2
	ds_store_2addr_b64 v16, v[10:11], v[12:13] offset0:4 offset1:6
	ds_store_2addr_b64 v16, v[14:15], v[8:9] offset0:8 offset1:10
	;; [unrolled: 1-line block ×3, first 2 shown]
.LBB0_127:
	s_or_b32 exec_lo, exec_lo, s0
	s_wait_dscnt 0x0
	s_barrier_signal -1
	s_barrier_wait -1
	s_mov_b32 s0, exec_lo
	v_cmpx_gt_u32_e32 8, v132
	s_cbranch_execz .LBB0_129
; %bb.128:
	v_lshlrev_b32_e32 v0, 4, v132
	s_add_nc_u64 s[0:1], s[26:27], s[28:29]
	ds_load_b64 v[0:1], v0
	s_wait_dscnt 0x0
	global_store_b64 v132, v[0:1], s[0:1] scale_offset
.LBB0_129:
	s_sendmsg sendmsg(MSG_DEALLOC_VGPRS)
	s_endpgm
	.section	.rodata,"a",@progbits
	.p2align	6, 0x0
	.amdhsa_kernel _ZN8rajaperf4apps16intsc_hexhex_hipILm64EEEvPdS2_mS2_
		.amdhsa_group_segment_fixed_size 5248
		.amdhsa_private_segment_fixed_size 20
		.amdhsa_kernarg_size 32
		.amdhsa_user_sgpr_count 4
		.amdhsa_user_sgpr_dispatch_ptr 1
		.amdhsa_user_sgpr_queue_ptr 0
		.amdhsa_user_sgpr_kernarg_segment_ptr 1
		.amdhsa_user_sgpr_dispatch_id 0
		.amdhsa_user_sgpr_kernarg_preload_length 0
		.amdhsa_user_sgpr_kernarg_preload_offset 0
		.amdhsa_user_sgpr_private_segment_size 0
		.amdhsa_wavefront_size32 1
		.amdhsa_uses_dynamic_stack 0
		.amdhsa_enable_private_segment 1
		.amdhsa_system_sgpr_workgroup_id_x 1
		.amdhsa_system_sgpr_workgroup_id_y 0
		.amdhsa_system_sgpr_workgroup_id_z 0
		.amdhsa_system_sgpr_workgroup_info 0
		.amdhsa_system_vgpr_workitem_id 2
		.amdhsa_next_free_vgpr 154
		.amdhsa_next_free_sgpr 34
		.amdhsa_named_barrier_count 0
		.amdhsa_reserve_vcc 1
		.amdhsa_float_round_mode_32 0
		.amdhsa_float_round_mode_16_64 0
		.amdhsa_float_denorm_mode_32 3
		.amdhsa_float_denorm_mode_16_64 3
		.amdhsa_fp16_overflow 0
		.amdhsa_memory_ordered 1
		.amdhsa_forward_progress 1
		.amdhsa_inst_pref_size 255
		.amdhsa_round_robin_scheduling 0
		.amdhsa_exception_fp_ieee_invalid_op 0
		.amdhsa_exception_fp_denorm_src 0
		.amdhsa_exception_fp_ieee_div_zero 0
		.amdhsa_exception_fp_ieee_overflow 0
		.amdhsa_exception_fp_ieee_underflow 0
		.amdhsa_exception_fp_ieee_inexact 0
		.amdhsa_exception_int_div_zero 0
	.end_amdhsa_kernel
	.section	.text._ZN8rajaperf4apps16intsc_hexhex_hipILm64EEEvPdS2_mS2_,"axG",@progbits,_ZN8rajaperf4apps16intsc_hexhex_hipILm64EEEvPdS2_mS2_,comdat
.Lfunc_end0:
	.size	_ZN8rajaperf4apps16intsc_hexhex_hipILm64EEEvPdS2_mS2_, .Lfunc_end0-_ZN8rajaperf4apps16intsc_hexhex_hipILm64EEEvPdS2_mS2_
                                        ; -- End function
	.set _ZN8rajaperf4apps16intsc_hexhex_hipILm64EEEvPdS2_mS2_.num_vgpr, 154
	.set _ZN8rajaperf4apps16intsc_hexhex_hipILm64EEEvPdS2_mS2_.num_agpr, 0
	.set _ZN8rajaperf4apps16intsc_hexhex_hipILm64EEEvPdS2_mS2_.numbered_sgpr, 34
	.set _ZN8rajaperf4apps16intsc_hexhex_hipILm64EEEvPdS2_mS2_.num_named_barrier, 0
	.set _ZN8rajaperf4apps16intsc_hexhex_hipILm64EEEvPdS2_mS2_.private_seg_size, 20
	.set _ZN8rajaperf4apps16intsc_hexhex_hipILm64EEEvPdS2_mS2_.uses_vcc, 1
	.set _ZN8rajaperf4apps16intsc_hexhex_hipILm64EEEvPdS2_mS2_.uses_flat_scratch, 1
	.set _ZN8rajaperf4apps16intsc_hexhex_hipILm64EEEvPdS2_mS2_.has_dyn_sized_stack, 0
	.set _ZN8rajaperf4apps16intsc_hexhex_hipILm64EEEvPdS2_mS2_.has_recursion, 0
	.set _ZN8rajaperf4apps16intsc_hexhex_hipILm64EEEvPdS2_mS2_.has_indirect_call, 0
	.section	.AMDGPU.csdata,"",@progbits
; Kernel info:
; codeLenInByte = 33200
; TotalNumSgprs: 36
; NumVgprs: 154
; ScratchSize: 20
; MemoryBound: 0
; FloatMode: 240
; IeeeMode: 1
; LDSByteSize: 5248 bytes/workgroup (compile time only)
; SGPRBlocks: 0
; VGPRBlocks: 9
; NumSGPRsForWavesPerEU: 36
; NumVGPRsForWavesPerEU: 154
; NamedBarCnt: 0
; Occupancy: 6
; WaveLimiterHint : 0
; COMPUTE_PGM_RSRC2:SCRATCH_EN: 1
; COMPUTE_PGM_RSRC2:USER_SGPR: 4
; COMPUTE_PGM_RSRC2:TRAP_HANDLER: 0
; COMPUTE_PGM_RSRC2:TGID_X_EN: 1
; COMPUTE_PGM_RSRC2:TGID_Y_EN: 0
; COMPUTE_PGM_RSRC2:TGID_Z_EN: 0
; COMPUTE_PGM_RSRC2:TIDIG_COMP_CNT: 2
	.section	.text._ZN8rajaperf4apps32intsc_hexhex_hip_fixup_vv_64to72ILm64EEEvPdmS2_,"axG",@progbits,_ZN8rajaperf4apps32intsc_hexhex_hip_fixup_vv_64to72ILm64EEEvPdmS2_,comdat
	.protected	_ZN8rajaperf4apps32intsc_hexhex_hip_fixup_vv_64to72ILm64EEEvPdmS2_ ; -- Begin function _ZN8rajaperf4apps32intsc_hexhex_hip_fixup_vv_64to72ILm64EEEvPdmS2_
	.globl	_ZN8rajaperf4apps32intsc_hexhex_hip_fixup_vv_64to72ILm64EEEvPdmS2_
	.p2align	8
	.type	_ZN8rajaperf4apps32intsc_hexhex_hip_fixup_vv_64to72ILm64EEEvPdmS2_,@function
_ZN8rajaperf4apps32intsc_hexhex_hip_fixup_vv_64to72ILm64EEEvPdmS2_: ; @_ZN8rajaperf4apps32intsc_hexhex_hip_fixup_vv_64to72ILm64EEEvPdmS2_
; %bb.0:
	s_bfe_u32 s2, ttmp6, 0x4000c
	s_load_b128 s[4:7], s[0:1], 0x0
	s_add_co_i32 s2, s2, 1
	s_and_b32 s3, ttmp6, 15
	s_mul_i32 s2, ttmp9, s2
	s_getreg_b32 s8, hwreg(HW_REG_IB_STS2, 6, 4)
	s_add_co_i32 s3, s3, s2
	s_cmp_eq_u32 s8, 0
	s_wait_xcnt 0x0
	s_load_b64 s[0:1], s[0:1], 0x10
	s_cselect_b32 s2, ttmp9, s3
	s_delay_alu instid0(SALU_CYCLE_1) | instskip(NEXT) | instid1(VALU_DEP_1)
	v_lshl_add_u32 v0, s2, 6, v0
	v_ashrrev_i32_e32 v1, 31, v0
	s_wait_kmcnt 0x0
	v_mad_nc_i64_i32 v[2:3], 0x240, v0, s[4:5]
	s_delay_alu instid0(VALU_DEP_2) | instskip(SKIP_1) | instid1(VALU_DEP_2)
	v_lshlrev_b64_e32 v[6:7], 8, v[0:1]
	v_lshlrev_b64_e32 v[4:5], 3, v[0:1]
	v_add_nc_u64_e32 v[0:1], s[0:1], v[6:7]
	s_mov_b32 s0, exec_lo
	s_delay_alu instid0(VALU_DEP_2)
	v_cmpx_gt_u64_e64 s[6:7], v[4:5]
	s_cbranch_execz .LBB1_2
; %bb.1:
	s_clause 0x1
	global_load_b64 v[6:7], v[2:3], off
	global_load_b64 v[8:9], v[2:3], off offset:64
	s_wait_loadcnt 0x0
	v_add_f64_e32 v[6:7], v[6:7], v[8:9]
	global_store_b64 v[0:1], v[6:7], off
	s_clause 0x1
	global_load_b64 v[6:7], v[2:3], off offset:8
	global_load_b64 v[8:9], v[2:3], off offset:72
	s_wait_loadcnt 0x0
	v_add_f64_e32 v[6:7], v[6:7], v[8:9]
	global_store_b64 v[0:1], v[6:7], off offset:8
	s_clause 0x1
	global_load_b64 v[6:7], v[2:3], off offset:16
	global_load_b64 v[8:9], v[2:3], off offset:80
	s_wait_loadcnt 0x0
	v_add_f64_e32 v[6:7], v[6:7], v[8:9]
	global_store_b64 v[0:1], v[6:7], off offset:16
	;; [unrolled: 6-line block ×3, first 2 shown]
.LBB1_2:
	s_wait_xcnt 0x0
	s_or_b32 exec_lo, exec_lo, s0
	v_dual_mov_b32 v7, v5 :: v_dual_bitop2_b32 v6, 1, v4 bitop3:0x54
	s_mov_b32 s0, exec_lo
	s_delay_alu instid0(VALU_DEP_1)
	v_cmpx_gt_u64_e64 s[6:7], v[6:7]
	s_cbranch_execz .LBB1_4
; %bb.3:
	s_clause 0x1
	global_load_b64 v[6:7], v[2:3], off offset:96
	global_load_b64 v[8:9], v[2:3], off offset:128
	s_wait_loadcnt 0x0
	v_add_f64_e32 v[6:7], v[6:7], v[8:9]
	global_store_b64 v[0:1], v[6:7], off offset:32
	s_clause 0x1
	global_load_b64 v[6:7], v[2:3], off offset:104
	global_load_b64 v[8:9], v[2:3], off offset:136
	s_wait_loadcnt 0x0
	v_add_f64_e32 v[6:7], v[6:7], v[8:9]
	global_store_b64 v[0:1], v[6:7], off offset:40
	s_clause 0x1
	global_load_b64 v[6:7], v[2:3], off offset:112
	global_load_b64 v[8:9], v[2:3], off offset:144
	s_wait_loadcnt 0x0
	v_add_f64_e32 v[6:7], v[6:7], v[8:9]
	global_store_b64 v[0:1], v[6:7], off offset:48
	s_clause 0x1
	global_load_b64 v[6:7], v[2:3], off offset:120
	global_load_b64 v[8:9], v[2:3], off offset:152
	s_wait_loadcnt 0x0
	v_add_f64_e32 v[6:7], v[6:7], v[8:9]
	global_store_b64 v[0:1], v[6:7], off offset:56
.LBB1_4:
	s_wait_xcnt 0x0
	s_or_b32 exec_lo, exec_lo, s0
	v_dual_mov_b32 v7, v5 :: v_dual_bitop2_b32 v6, 2, v4 bitop3:0x54
	s_mov_b32 s0, exec_lo
	s_delay_alu instid0(VALU_DEP_1)
	v_cmpx_gt_u64_e64 s[6:7], v[6:7]
	s_cbranch_execz .LBB1_6
; %bb.5:
	s_clause 0x1
	global_load_b64 v[6:7], v[2:3], off offset:160
	global_load_b64 v[8:9], v[2:3], off offset:192
	s_wait_loadcnt 0x0
	v_add_f64_e32 v[6:7], v[6:7], v[8:9]
	global_store_b64 v[0:1], v[6:7], off offset:64
	s_clause 0x1
	global_load_b64 v[6:7], v[2:3], off offset:168
	global_load_b64 v[8:9], v[2:3], off offset:200
	s_wait_loadcnt 0x0
	v_add_f64_e32 v[6:7], v[6:7], v[8:9]
	global_store_b64 v[0:1], v[6:7], off offset:72
	s_clause 0x1
	global_load_b64 v[6:7], v[2:3], off offset:176
	global_load_b64 v[8:9], v[2:3], off offset:208
	s_wait_loadcnt 0x0
	v_add_f64_e32 v[6:7], v[6:7], v[8:9]
	global_store_b64 v[0:1], v[6:7], off offset:80
	s_clause 0x1
	global_load_b64 v[6:7], v[2:3], off offset:184
	global_load_b64 v[8:9], v[2:3], off offset:216
	s_wait_loadcnt 0x0
	v_add_f64_e32 v[6:7], v[6:7], v[8:9]
	global_store_b64 v[0:1], v[6:7], off offset:88
.LBB1_6:
	;; [unrolled: 33-line block ×6, first 2 shown]
	s_wait_xcnt 0x0
	s_or_b32 exec_lo, exec_lo, s0
	v_or_b32_e32 v4, 7, v4
	s_mov_b32 s0, exec_lo
	s_delay_alu instid0(VALU_DEP_1)
	v_cmpx_gt_u64_e64 s[6:7], v[4:5]
	s_cbranch_execz .LBB1_16
; %bb.15:
	s_clause 0x1
	global_load_b64 v[4:5], v[2:3], off offset:480
	global_load_b64 v[6:7], v[2:3], off offset:512
	s_wait_loadcnt 0x0
	v_add_f64_e32 v[4:5], v[4:5], v[6:7]
	global_store_b64 v[0:1], v[4:5], off offset:224
	s_clause 0x1
	global_load_b64 v[4:5], v[2:3], off offset:488
	global_load_b64 v[6:7], v[2:3], off offset:520
	s_wait_loadcnt 0x0
	v_add_f64_e32 v[4:5], v[4:5], v[6:7]
	global_store_b64 v[0:1], v[4:5], off offset:232
	;; [unrolled: 6-line block ×4, first 2 shown]
.LBB1_16:
	s_endpgm
	.section	.rodata,"a",@progbits
	.p2align	6, 0x0
	.amdhsa_kernel _ZN8rajaperf4apps32intsc_hexhex_hip_fixup_vv_64to72ILm64EEEvPdmS2_
		.amdhsa_group_segment_fixed_size 0
		.amdhsa_private_segment_fixed_size 0
		.amdhsa_kernarg_size 24
		.amdhsa_user_sgpr_count 2
		.amdhsa_user_sgpr_dispatch_ptr 0
		.amdhsa_user_sgpr_queue_ptr 0
		.amdhsa_user_sgpr_kernarg_segment_ptr 1
		.amdhsa_user_sgpr_dispatch_id 0
		.amdhsa_user_sgpr_kernarg_preload_length 0
		.amdhsa_user_sgpr_kernarg_preload_offset 0
		.amdhsa_user_sgpr_private_segment_size 0
		.amdhsa_wavefront_size32 1
		.amdhsa_uses_dynamic_stack 0
		.amdhsa_enable_private_segment 0
		.amdhsa_system_sgpr_workgroup_id_x 1
		.amdhsa_system_sgpr_workgroup_id_y 0
		.amdhsa_system_sgpr_workgroup_id_z 0
		.amdhsa_system_sgpr_workgroup_info 0
		.amdhsa_system_vgpr_workitem_id 0
		.amdhsa_next_free_vgpr 10
		.amdhsa_next_free_sgpr 9
		.amdhsa_named_barrier_count 0
		.amdhsa_reserve_vcc 0
		.amdhsa_float_round_mode_32 0
		.amdhsa_float_round_mode_16_64 0
		.amdhsa_float_denorm_mode_32 3
		.amdhsa_float_denorm_mode_16_64 3
		.amdhsa_fp16_overflow 0
		.amdhsa_memory_ordered 1
		.amdhsa_forward_progress 1
		.amdhsa_inst_pref_size 16
		.amdhsa_round_robin_scheduling 0
		.amdhsa_exception_fp_ieee_invalid_op 0
		.amdhsa_exception_fp_denorm_src 0
		.amdhsa_exception_fp_ieee_div_zero 0
		.amdhsa_exception_fp_ieee_overflow 0
		.amdhsa_exception_fp_ieee_underflow 0
		.amdhsa_exception_fp_ieee_inexact 0
		.amdhsa_exception_int_div_zero 0
	.end_amdhsa_kernel
	.section	.text._ZN8rajaperf4apps32intsc_hexhex_hip_fixup_vv_64to72ILm64EEEvPdmS2_,"axG",@progbits,_ZN8rajaperf4apps32intsc_hexhex_hip_fixup_vv_64to72ILm64EEEvPdmS2_,comdat
.Lfunc_end1:
	.size	_ZN8rajaperf4apps32intsc_hexhex_hip_fixup_vv_64to72ILm64EEEvPdmS2_, .Lfunc_end1-_ZN8rajaperf4apps32intsc_hexhex_hip_fixup_vv_64to72ILm64EEEvPdmS2_
                                        ; -- End function
	.set _ZN8rajaperf4apps32intsc_hexhex_hip_fixup_vv_64to72ILm64EEEvPdmS2_.num_vgpr, 10
	.set _ZN8rajaperf4apps32intsc_hexhex_hip_fixup_vv_64to72ILm64EEEvPdmS2_.num_agpr, 0
	.set _ZN8rajaperf4apps32intsc_hexhex_hip_fixup_vv_64to72ILm64EEEvPdmS2_.numbered_sgpr, 9
	.set _ZN8rajaperf4apps32intsc_hexhex_hip_fixup_vv_64to72ILm64EEEvPdmS2_.num_named_barrier, 0
	.set _ZN8rajaperf4apps32intsc_hexhex_hip_fixup_vv_64to72ILm64EEEvPdmS2_.private_seg_size, 0
	.set _ZN8rajaperf4apps32intsc_hexhex_hip_fixup_vv_64to72ILm64EEEvPdmS2_.uses_vcc, 0
	.set _ZN8rajaperf4apps32intsc_hexhex_hip_fixup_vv_64to72ILm64EEEvPdmS2_.uses_flat_scratch, 0
	.set _ZN8rajaperf4apps32intsc_hexhex_hip_fixup_vv_64to72ILm64EEEvPdmS2_.has_dyn_sized_stack, 0
	.set _ZN8rajaperf4apps32intsc_hexhex_hip_fixup_vv_64to72ILm64EEEvPdmS2_.has_recursion, 0
	.set _ZN8rajaperf4apps32intsc_hexhex_hip_fixup_vv_64to72ILm64EEEvPdmS2_.has_indirect_call, 0
	.section	.AMDGPU.csdata,"",@progbits
; Kernel info:
; codeLenInByte = 1936
; TotalNumSgprs: 9
; NumVgprs: 10
; ScratchSize: 0
; MemoryBound: 1
; FloatMode: 240
; IeeeMode: 1
; LDSByteSize: 0 bytes/workgroup (compile time only)
; SGPRBlocks: 0
; VGPRBlocks: 0
; NumSGPRsForWavesPerEU: 9
; NumVGPRsForWavesPerEU: 10
; NamedBarCnt: 0
; Occupancy: 16
; WaveLimiterHint : 1
; COMPUTE_PGM_RSRC2:SCRATCH_EN: 0
; COMPUTE_PGM_RSRC2:USER_SGPR: 2
; COMPUTE_PGM_RSRC2:TRAP_HANDLER: 0
; COMPUTE_PGM_RSRC2:TGID_X_EN: 1
; COMPUTE_PGM_RSRC2:TGID_Y_EN: 0
; COMPUTE_PGM_RSRC2:TGID_Z_EN: 0
; COMPUTE_PGM_RSRC2:TIDIG_COMP_CNT: 0
	.section	.text._ZN8rajaperf17lambda_hip_forallILm64EZNS_4apps12INTSC_HEXHEX17runHipVariantImplILm64EEEvNS_9VariantIDEEUllE_EEvllT0_,"axG",@progbits,_ZN8rajaperf17lambda_hip_forallILm64EZNS_4apps12INTSC_HEXHEX17runHipVariantImplILm64EEEvNS_9VariantIDEEUllE_EEvllT0_,comdat
	.protected	_ZN8rajaperf17lambda_hip_forallILm64EZNS_4apps12INTSC_HEXHEX17runHipVariantImplILm64EEEvNS_9VariantIDEEUllE_EEvllT0_ ; -- Begin function _ZN8rajaperf17lambda_hip_forallILm64EZNS_4apps12INTSC_HEXHEX17runHipVariantImplILm64EEEvNS_9VariantIDEEUllE_EEvllT0_
	.globl	_ZN8rajaperf17lambda_hip_forallILm64EZNS_4apps12INTSC_HEXHEX17runHipVariantImplILm64EEEvNS_9VariantIDEEUllE_EEvllT0_
	.p2align	8
	.type	_ZN8rajaperf17lambda_hip_forallILm64EZNS_4apps12INTSC_HEXHEX17runHipVariantImplILm64EEEvNS_9VariantIDEEUllE_EEvllT0_,@function
_ZN8rajaperf17lambda_hip_forallILm64EZNS_4apps12INTSC_HEXHEX17runHipVariantImplILm64EEEvNS_9VariantIDEEUllE_EEvllT0_: ; @_ZN8rajaperf17lambda_hip_forallILm64EZNS_4apps12INTSC_HEXHEX17runHipVariantImplILm64EEEvNS_9VariantIDEEUllE_EEvllT0_
; %bb.0:
	s_load_b128 s[4:7], s[2:3], 0x0
	s_bfe_u32 s8, ttmp6, 0x4000c
	s_and_b32 s9, ttmp6, 15
	s_add_co_i32 s8, s8, 1
	s_getreg_b32 s10, hwreg(HW_REG_IB_STS2, 6, 4)
	s_mul_i32 s8, ttmp9, s8
	v_mov_b32_e32 v3, 0
	s_add_co_i32 s8, s9, s8
	s_cmp_eq_u32 s10, 0
	s_mov_b32 s9, 0
	s_cselect_b32 s8, ttmp9, s8
	v_and_b32_e32 v10, 0x3ff, v0
	v_mov_b32_e32 v11, v3
	s_lshl_b64 s[8:9], s[8:9], 6
	s_wait_kmcnt 0x0
	s_add_nc_u64 s[4:5], s[4:5], s[8:9]
	s_delay_alu instid0(VALU_DEP_1) | instid1(SALU_CYCLE_1)
	v_add_nc_u64_e32 v[82:83], s[4:5], v[10:11]
	s_mov_b32 s4, exec_lo
	s_delay_alu instid0(VALU_DEP_1)
	v_cmpx_gt_i64_e64 s[6:7], v[82:83]
	s_cbranch_execz .LBB2_134
; %bb.1:
	v_dual_mov_b32 v2, v82 :: v_dual_ashrrev_i32 v1, 31, v83
	s_load_b128 s[28:31], s[2:3], 0x10
	v_mov_b64_e32 v[20:21], 0
	v_mov_b64_e32 v[22:23], 0
	s_delay_alu instid0(VALU_DEP_3) | instskip(SKIP_3) | instid1(VALU_DEP_3)
	v_mul_u64_e32 v[4:5], 0x38e38e39, v[2:3]
	v_mov_b64_e32 v[18:19], 0
	v_mov_b64_e32 v[24:25], 0
	s_mov_b32 s26, exec_lo
	v_dual_mov_b32 v7, v3 :: v_dual_mov_b32 v2, v5
	s_delay_alu instid0(VALU_DEP_1) | instskip(NEXT) | instid1(VALU_DEP_1)
	v_mad_nc_u64_u32 v[4:5], 0x38e38e39, v83, v[2:3]
	v_dual_mov_b32 v2, v5 :: v_dual_mov_b32 v5, v3
	s_delay_alu instid0(VALU_DEP_1) | instskip(NEXT) | instid1(VALU_DEP_1)
	v_mad_nc_u64_u32 v[4:5], 0xe38e38e, v82, v[4:5]
	v_mov_b32_e32 v6, v5
	s_delay_alu instid0(VALU_DEP_1) | instskip(NEXT) | instid1(VALU_DEP_1)
	v_add_nc_u64_e32 v[4:5], v[2:3], v[6:7]
	v_mad_nc_u64_u32 v[4:5], 0xe38e38e, v83, v[4:5]
	s_delay_alu instid0(VALU_DEP_1) | instskip(NEXT) | instid1(VALU_DEP_1)
	v_mad_nc_u64_u32 v[4:5], 0x38e38e39, v1, v[4:5]
	v_mad_u32 v2, 0x38e38e39, v1, v5
	s_delay_alu instid0(VALU_DEP_1) | instskip(NEXT) | instid1(VALU_DEP_1)
	v_mad_u32 v5, 0xe38e38e, v1, v2
	v_ashrrev_i64 v[6:7], 2, v[4:5]
	v_lshrrev_b32_e32 v2, 31, v5
	s_delay_alu instid0(VALU_DEP_1) | instskip(SKIP_1) | instid1(VALU_DEP_1)
	v_add_nc_u64_e32 v[84:85], v[6:7], v[2:3]
	s_wait_kmcnt 0x0
	v_cmpx_gt_u64_e64 s[30:31], v[84:85]
	s_cbranch_execz .LBB2_126
; %bb.2:
	v_dual_mov_b32 v5, 0 :: v_dual_mov_b32 v4, v82
	s_mov_b64 s[4:5], 0xaaaaaaab
                                        ; implicit-def: $vgpr16_vgpr17
                                        ; implicit-def: $vgpr14_vgpr15
	s_delay_alu instid0(VALU_DEP_1) | instskip(NEXT) | instid1(VALU_DEP_2)
	v_mov_b32_e32 v7, v5
	v_mul_u64_e32 v[2:3], s[4:5], v[4:5]
	s_delay_alu instid0(VALU_DEP_1) | instskip(NEXT) | instid1(VALU_DEP_1)
	v_mov_b32_e32 v4, v3
	v_mad_nc_u64_u32 v[2:3], 0xaaaaaaab, v83, v[4:5]
	s_delay_alu instid0(VALU_DEP_1) | instskip(NEXT) | instid1(VALU_DEP_1)
	v_dual_mov_b32 v4, v3 :: v_dual_mov_b32 v3, v5
	v_mad_nc_u64_u32 v[2:3], 0x2aaaaaaa, v82, v[2:3]
	s_delay_alu instid0(VALU_DEP_1) | instskip(NEXT) | instid1(VALU_DEP_1)
	v_mov_b32_e32 v6, v3
	v_add_nc_u64_e32 v[2:3], v[4:5], v[6:7]
	s_delay_alu instid0(VALU_DEP_1) | instskip(NEXT) | instid1(VALU_DEP_1)
	v_mad_nc_u64_u32 v[2:3], 0x2aaaaaaa, v83, v[2:3]
	v_mad_nc_u64_u32 v[2:3], 0xaaaaaaab, v1, v[2:3]
	s_delay_alu instid0(VALU_DEP_1) | instskip(NEXT) | instid1(VALU_DEP_1)
	v_mad_u32 v3, 0xaaaaaaab, v1, v3
	v_mad_u32 v3, 0x2aaaaaaa, v1, v3
	s_delay_alu instid0(VALU_DEP_1) | instskip(NEXT) | instid1(VALU_DEP_1)
	v_lshrrev_b32_e32 v4, 31, v3
	v_add_nc_u64_e32 v[2:3], v[2:3], v[4:5]
	s_delay_alu instid0(VALU_DEP_1) | instskip(NEXT) | instid1(VALU_DEP_1)
	v_dual_mov_b32 v4, v2 :: v_dual_ashrrev_i32 v1, 31, v3
	v_mul_u64_e32 v[6:7], s[4:5], v[4:5]
	s_mov_b32 s4, exec_lo
	s_delay_alu instid0(VALU_DEP_1) | instskip(NEXT) | instid1(VALU_DEP_1)
	v_mov_b32_e32 v4, v7
	v_mad_nc_u64_u32 v[6:7], 0xaaaaaaab, v3, v[4:5]
	s_delay_alu instid0(VALU_DEP_1) | instskip(NEXT) | instid1(VALU_DEP_1)
	v_dual_mov_b32 v4, v7 :: v_dual_mov_b32 v7, v5
	v_mad_nc_u64_u32 v[6:7], 0x2aaaaaaa, v2, v[6:7]
	s_delay_alu instid0(VALU_DEP_1) | instskip(NEXT) | instid1(VALU_DEP_1)
	v_dual_mov_b32 v6, v7 :: v_dual_mov_b32 v7, v5
	v_add_nc_u64_e32 v[6:7], v[4:5], v[6:7]
	s_delay_alu instid0(VALU_DEP_1) | instskip(NEXT) | instid1(VALU_DEP_1)
	v_mad_nc_u64_u32 v[6:7], 0x2aaaaaaa, v3, v[6:7]
	v_mad_nc_u64_u32 v[6:7], 0xaaaaaaab, v1, v[6:7]
	s_delay_alu instid0(VALU_DEP_1) | instskip(NEXT) | instid1(VALU_DEP_1)
	v_mad_u32 v4, 0xaaaaaaab, v1, v7
	v_mad_u32 v7, 0x2aaaaaaa, v1, v4
	s_delay_alu instid0(VALU_DEP_1) | instskip(SKIP_1) | instid1(VALU_DEP_1)
	v_lshrrev_b64 v[8:9], 1, v[6:7]
	v_lshrrev_b32_e32 v4, 31, v7
	v_add_nc_u64_e32 v[4:5], v[8:9], v[4:5]
	s_delay_alu instid0(VALU_DEP_1) | instskip(NEXT) | instid1(VALU_DEP_1)
	v_mul_u64_e32 v[4:5], 12, v[4:5]
	v_sub_nc_u64_e32 v[4:5], v[2:3], v[4:5]
	s_delay_alu instid0(VALU_DEP_1)
	v_cmpx_lt_i64_e32 5, v[4:5]
	s_xor_b32 s4, exec_lo, s4
; %bb.3:
	v_lshlrev_b64_e32 v[6:7], 2, v[4:5]
	s_get_pc_i64 s[6:7]
	s_add_nc_u64 s[6:7], s[6:7], __const._ZN8rajaperf14hex_intsc_subzEPKdS1_iiRdS2_S2_S2_.cyc_nod@rel64+48
	v_sub_nc_u64_e32 v[16:17], 12, v[4:5]
                                        ; implicit-def: $vgpr4_vgpr5
	s_delay_alu instid0(VALU_DEP_2)
	v_sub_nc_u64_e32 v[14:15], s[6:7], v[6:7]
; %bb.4:
	s_or_saveexec_b32 s8, s4
	s_load_b128 s[4:7], s[2:3], 0x20
	v_mov_b64_e32 v[12:13], 7
	s_xor_b32 exec_lo, exec_lo, s8
; %bb.5:
	s_wait_xcnt 0x0
	s_get_pc_i64 s[2:3]
	s_add_nc_u64 s[2:3], s[2:3], __const._ZN8rajaperf14hex_intsc_subzEPKdS1_iiRdS2_S2_S2_.cyc_nod@rel64+8
	v_mov_b64_e32 v[12:13], 0
	v_mov_b64_e32 v[16:17], v[4:5]
	v_lshl_add_u64 v[14:15], v[4:5], 2, s[2:3]
; %bb.6:
	s_or_b32 exec_lo, exec_lo, s8
	v_mul_u64_e32 v[2:3], 6, v[2:3]
	s_wait_xcnt 0x0
	s_get_pc_i64 s[2:3]
	s_add_nc_u64 s[2:3], s[2:3], __const._ZN8rajaperf14hex_intsc_subzEPKdS1_iiRdS2_S2_S2_.vert_cyc@rel64+4
	s_wait_kmcnt 0x0
	v_mad_nc_u64_u32 v[20:21], 0xc0, v84, s[6:7]
	s_mov_b64 s[6:7], 0x4ffffffff
                                        ; implicit-def: $sgpr8
	v_dual_mov_b32 v140, -1 :: v_dual_mov_b32 v137, -1
	v_dual_mov_b32 v135, -1 :: v_dual_mov_b32 v138, -1
	s_delay_alu instid0(VALU_DEP_4) | instskip(NEXT) | instid1(VALU_DEP_1)
	v_sub_nc_u64_e32 v[2:3], v[82:83], v[2:3]
	v_add_nc_u16 v1, v2, 1
	s_delay_alu instid0(VALU_DEP_2) | instskip(NEXT) | instid1(VALU_DEP_2)
	v_lshl_add_u64 v[2:3], v[2:3], 2, s[2:3]
	v_bfe_i32 v4, v1, 0, 8
	global_load_b32 v2, v[2:3], off
	v_mul_lo_u16 v4, v4, 43
	s_delay_alu instid0(VALU_DEP_1) | instskip(SKIP_2) | instid1(VALU_DEP_1)
	v_lshrrev_b16 v5, 15, v4
	v_lshrrev_b16 v4, 8, v4
	s_wait_xcnt 0x0
	v_add_nc_u16 v3, v4, v5
	s_delay_alu instid0(VALU_DEP_1) | instskip(NEXT) | instid1(VALU_DEP_1)
	v_mul_lo_u16 v3, v3, 6
	v_sub_nc_u16 v1, v1, v3
	s_delay_alu instid0(VALU_DEP_1) | instskip(SKIP_1) | instid1(VALU_DEP_1)
	v_bfe_i32 v4, v1, 0, 8
	v_mul_lo_u32 v1, 0xc0, v85
	v_dual_ashrrev_i32 v5, 31, v4 :: v_dual_add_nc_u32 v21, v1, v21
	s_delay_alu instid0(VALU_DEP_1) | instskip(SKIP_2) | instid1(SALU_CYCLE_1)
	v_lshl_add_u64 v[4:5], v[4:5], 2, s[2:3]
	s_get_pc_i64 s[2:3]
	s_add_nc_u64 s[2:3], s[2:3], __const._ZN8rajaperf14hex_intsc_subzEPKdS1_iiRdS2_S2_S2_.cyc_nod@rel64+4
	v_lshl_add_u64 v[16:17], v[16:17], 2, s[2:3]
	s_load_b64 s[2:3], s[0:1], 0x4
	global_load_b32 v18, v[4:5], off
	s_wait_kmcnt 0x0
	s_lshr_b32 s0, s2, 16
	s_delay_alu instid0(SALU_CYCLE_1) | instskip(SKIP_2) | instid1(VALU_DEP_1)
	s_mul_i32 s0, s0, s3
	s_wait_loadcnt 0x1
	v_ashrrev_i32_e32 v3, 31, v2
	v_lshl_add_u64 v[22:23], v[2:3], 3, v[20:21]
	s_clause 0x3
	global_load_b64 v[86:87], v[20:21], off
	global_load_b128 v[6:9], v[20:21], off offset:56
	global_load_b128 v[2:5], v[20:21], off offset:120
	global_load_b64 v[24:25], v[22:23], off
	s_wait_loadcnt 0x4
	v_ashrrev_i32_e32 v19, 31, v18
	s_wait_loadcnt 0x2
	v_add_f64_e64 v[6:7], v[6:7], -v[86:87]
	s_wait_loadcnt 0x1
	v_add_f64_e64 v[88:89], v[2:3], -v[8:9]
	v_lshl_add_u64 v[18:19], v[18:19], 3, v[20:21]
	s_clause 0x5
	global_load_b64 v[26:27], v[18:19], off offset:64
	global_load_b64 v[28:29], v[18:19], off offset:128
	;; [unrolled: 1-line block ×3, first 2 shown]
	global_load_b64 v[32:33], v[18:19], off
	global_load_b64 v[34:35], v[22:23], off offset:64
	global_load_b64 v[36:37], v[22:23], off offset:128
	global_load_b32 v20, v[16:17], off
	global_load_b32 v22, v[14:15], off
	s_wait_loadcnt 0x8
	v_dual_add_f64 v[100:101], v[24:25], -v[86:87] :: v_dual_lshlrev_b32 v18, 3, v12
	s_delay_alu instid0(VALU_DEP_1)
	v_dual_mul_f64 v[2:3], v[100:101], v[88:89] :: v_dual_mov_b32 v19, 0
	s_wait_loadcnt 0x7
	v_add_f64_e64 v[94:95], v[26:27], -v[8:9]
	s_wait_loadcnt 0x6
	v_add_f64_e64 v[92:93], v[28:29], -v[4:5]
	s_wait_loadcnt 0x5
	v_add_f64_e64 v[90:91], v[30:31], -v[4:5]
	s_wait_loadcnt 0x4
	v_add_f64_e64 v[96:97], v[32:33], -v[86:87]
	s_wait_loadcnt 0x3
	v_add_f64_e64 v[102:103], v[34:35], -v[8:9]
	s_wait_loadcnt 0x0
	v_dual_add_f64 v[98:99], v[36:37], -v[4:5] :: v_dual_ashrrev_i32 v23, 31, v22
	v_mad_nc_u64_u32 v[28:29], 0xc0, v84, s[4:5]
	v_ashrrev_i32_e32 v21, 31, v20
	s_mov_b64 s[4:5], 0x600000005
	s_delay_alu instid0(VALU_DEP_2) | instskip(SKIP_1) | instid1(VALU_DEP_2)
	v_add_nc_u32_e32 v29, v1, v29
	v_bfe_u32 v1, v0, 10, 10
	v_add_nc_u64_e32 v[12:13], v[28:29], v[18:19]
	v_lshl_add_u64 v[20:21], v[20:21], 3, v[28:29]
	v_lshl_add_u64 v[22:23], v[22:23], 3, v[28:29]
	v_bfe_u32 v18, v0, 20, 10
	v_mul_f64_e32 v[14:15], v[100:101], v[94:95]
	v_mul_f64_e32 v[16:17], v[92:93], v[2:3]
	;; [unrolled: 1-line block ×6, first 2 shown]
	v_fma_f64 v[2:3], v[102:103], v[6:7], -v[2:3]
	v_fma_f64 v[26:27], v[14:15], v[90:91], -v[16:17]
	v_mul_f64_e32 v[16:17], v[102:103], v[96:97]
	v_fma_f64 v[54:55], v[94:95], v[90:91], -v[54:55]
	s_delay_alu instid0(VALU_DEP_3)
	v_fmac_f64_e32 v[26:27], v[98:99], v[24:25]
	s_clause 0x6
	global_load_b64 v[24:25], v[12:13], off offset:64
	global_load_b64 v[28:29], v[20:21], off offset:64
	;; [unrolled: 1-line block ×4, first 2 shown]
	global_load_b64 v[36:37], v[20:21], off
	global_load_b64 v[38:39], v[12:13], off
	;; [unrolled: 1-line block ×3, first 2 shown]
	s_wait_xcnt 0x1
	v_mul_f64_e32 v[12:13], v[94:95], v[6:7]
	s_clause 0x1
	global_load_b64 v[42:43], v[22:23], off offset:128
	global_load_b64 v[44:45], v[20:21], off offset:128
	s_wait_xcnt 0x1
	v_mul_f64_e32 v[22:23], v[96:97], v[90:91]
	v_fma_f64 v[26:27], -v[16:17], v[90:91], v[26:27]
	s_delay_alu instid0(VALU_DEP_2) | instskip(NEXT) | instid1(VALU_DEP_2)
	v_fma_f64 v[56:57], v[92:93], v[6:7], -v[22:23]
	v_fmac_f64_e32 v[26:27], v[92:93], v[30:31]
	s_delay_alu instid0(VALU_DEP_1) | instskip(SKIP_1) | instid1(VALU_DEP_2)
	v_fma_f64 v[104:105], -v[98:99], v[12:13], v[26:27]
	v_mul_f64_e32 v[26:27], v[98:99], v[6:7]
	v_fmaak_f64 v[46:47], v[104:105], v[104:105], 0x2b2bff2ee48e0530
	s_delay_alu instid0(VALU_DEP_1) | instskip(SKIP_1) | instid1(VALU_DEP_2)
	v_div_scale_f64 v[48:49], null, v[46:47], v[46:47], v[104:105]
	v_div_scale_f64 v[52:53], vcc_lo, v[104:105], v[46:47], v[104:105]
	v_rcp_f64_e32 v[50:51], v[48:49]
	s_wait_xcnt 0x0
	v_nop
	s_delay_alu instid0(TRANS32_DEP_1) | instskip(NEXT) | instid1(VALU_DEP_1)
	v_fma_f64 v[20:21], -v[48:49], v[50:51], 1.0
	v_fmac_f64_e32 v[50:51], v[50:51], v[20:21]
	s_delay_alu instid0(VALU_DEP_1) | instskip(NEXT) | instid1(VALU_DEP_1)
	v_fma_f64 v[20:21], -v[48:49], v[50:51], 1.0
	v_fmac_f64_e32 v[50:51], v[50:51], v[20:21]
	s_wait_loadcnt 0x5
	v_add_f64_e64 v[34:35], v[34:35], -v[4:5]
	v_add_f64_e64 v[24:25], v[24:25], -v[8:9]
	v_add_f64_e64 v[30:31], v[28:29], -v[8:9]
	v_add_f64_e64 v[22:23], v[32:33], -v[8:9]
	s_wait_loadcnt 0x3
	v_add_f64_e64 v[20:21], v[38:39], -v[86:87]
	v_fma_f64 v[38:39], v[100:101], v[90:91], -v[26:27]
	v_add_f64_e64 v[26:27], v[36:37], -v[86:87]
	s_wait_loadcnt 0x2
	v_add_f64_e64 v[32:33], v[40:41], -v[86:87]
	s_wait_loadcnt 0x1
	;; [unrolled: 2-line block ×3, first 2 shown]
	v_add_f64_e64 v[36:37], v[44:45], -v[4:5]
	v_fma_f64 v[42:43], v[98:99], v[88:89], -v[60:61]
	v_fma_f64 v[44:45], v[96:97], v[88:89], -v[12:13]
	v_mul_f64_e32 v[58:59], v[52:53], v[50:51]
	v_mul_f64_e32 v[62:63], v[24:25], v[56:57]
	;; [unrolled: 1-line block ×4, first 2 shown]
	s_delay_alu instid0(VALU_DEP_4)
	v_fma_f64 v[48:49], -v[48:49], v[58:59], v[52:53]
	v_mul_f64_e32 v[52:53], v[30:31], v[56:57]
	v_mul_f64_e32 v[56:57], v[24:25], v[38:39]
	;; [unrolled: 1-line block ×3, first 2 shown]
	v_fmac_f64_e32 v[62:63], v[20:21], v[54:55]
	v_fmac_f64_e32 v[40:41], v[32:33], v[54:55]
	;; [unrolled: 1-line block ×3, first 2 shown]
	v_div_fmas_f64 v[12:13], v[48:49], v[50:51], v[58:59]
	v_fmac_f64_e32 v[52:53], v[26:27], v[54:55]
	v_fmac_f64_e32 v[56:57], v[20:21], v[42:43]
	;; [unrolled: 1-line block ×3, first 2 shown]
	v_mul_u32_u24_e32 v48, s3, v1
	v_mul_u32_u24_e32 v49, s0, v10
	s_mov_b64 s[0:1], 0x200000001
	s_mov_b64 s[2:3], 0x800000007
	s_delay_alu instid0(VALU_DEP_1) | instskip(NEXT) | instid1(VALU_DEP_1)
	v_add3_u32 v18, v49, v48, v18
	v_mul_lo_u32 v18, 0x50, v18
	v_fmac_f64_e32 v[62:63], v[34:35], v[44:45]
	v_fmac_f64_e32 v[40:41], v[28:29], v[44:45]
	;; [unrolled: 1-line block ×3, first 2 shown]
	s_delay_alu instid0(VALU_DEP_4) | instskip(SKIP_4) | instid1(VALU_DEP_4)
	v_add_nc_u32_e32 v134, 0x80, v18
	v_div_fixup_f64 v[12:13], v[12:13], v[46:47], v[104:105]
	v_fmac_f64_e32 v[52:53], v[36:37], v[44:45]
	v_fmac_f64_e32 v[56:57], v[34:35], v[2:3]
	;; [unrolled: 1-line block ×3, first 2 shown]
	v_fma_f64 v[42:43], -v[62:63], v[12:13], 1.0
	s_delay_alu instid0(VALU_DEP_4)
	v_fma_f64 v[44:45], -v[52:53], v[12:13], 1.0
	v_fma_f64 v[46:47], -v[40:41], v[12:13], 1.0
	v_mul_f64_e32 v[64:65], v[56:57], v[12:13]
	v_mul_f64_e32 v[66:67], v[60:61], v[12:13]
	v_mul_f64_e32 v[68:69], v[38:39], v[12:13]
	v_mul_f64_e32 v[116:117], v[62:63], v[12:13]
	v_mul_f64_e32 v[114:115], v[52:53], v[12:13]
	v_mul_f64_e32 v[112:113], v[40:41], v[12:13]
	v_mov_b64_e32 v[40:41], s[6:7]
	v_fma_f64 v[0:1], -v[56:57], v[12:13], v[42:43]
	v_fma_f64 v[2:3], -v[60:61], v[12:13], v[44:45]
	;; [unrolled: 1-line block ×3, first 2 shown]
	v_mov_b64_e32 v[38:39], s[0:1]
	v_mov_b64_e32 v[42:43], s[4:5]
	v_mov_b64_e32 v[44:45], s[2:3]
	ds_store_2addr_b64 v18, v[38:39], v[40:41] offset0:21 offset1:22
	ds_store_2addr_b64 v18, v[42:43], v[44:45] offset0:23 offset1:24
	v_mov_b32_e32 v46, 3
	s_mov_b32 s4, 0
	scratch_store_b32 off, v46, off offset:4
	ds_store_b32 v18, v135 offset:200
	ds_store_b128 v18, v[0:3] offset:128
	ds_store_b64 v18, v[10:11] offset:144
	v_mov_b64_e32 v[38:39], v[0:1]
.LBB2_7:                                ; =>This Inner Loop Header: Depth=1
	v_lshl_add_u32 v18, v19, 2, v134
	s_delay_alu instid0(VALU_DEP_2)
	v_cmp_le_f64_e32 vcc_lo, 0, v[38:39]
	v_cmp_gt_f64_e64 s1, 0, v[38:39]
	v_mov_b32_e32 v136, v137
	ds_load_b32 v18, v18 offset:40
	s_wait_dscnt 0x0
	v_max_i32_e32 v42, 0, v18
	v_cmp_gt_i32_e64 s3, 0, v18
	s_delay_alu instid0(VALU_DEP_2)
	v_lshl_add_u32 v40, v42, 3, v134
	ds_load_b64 v[40:41], v40
	s_wait_dscnt 0x0
	v_cmp_gt_f64_e64 s0, 0, v[40:41]
	v_cmp_le_f64_e64 s2, 0, v[40:41]
	v_mov_b64_e32 v[38:39], v[40:41]
	s_and_b32 vcc_lo, vcc_lo, s0
	s_and_b32 s0, s1, s2
	v_dual_cndmask_b32 v140, v140, v42 :: v_dual_cndmask_b32 v135, v135, v19
	v_dual_cndmask_b32 v137, v136, v42, s0 :: v_dual_cndmask_b32 v138, v138, v19, s0
	s_or_b32 s4, s3, s4
	v_mov_b32_e32 v19, v18
	s_and_not1_b32 s0, s8, exec_lo
	s_and_b32 s1, s1, exec_lo
	s_delay_alu instid0(SALU_CYCLE_1)
	s_or_b32 s8, s0, s1
	s_wait_xcnt 0x0
	s_and_not1_b32 exec_lo, exec_lo, s4
	s_cbranch_execnz .LBB2_7
; %bb.8:
	s_or_b32 exec_lo, exec_lo, s4
	v_dual_mul_f64 v[18:19], v[100:101], v[92:93] :: v_dual_mov_b32 v70, 0
	v_dual_mul_f64 v[38:39], v[98:99], v[94:95] :: v_dual_mov_b32 v139, -1
	v_add_f64_e64 v[14:15], v[14:15], -v[16:17]
	v_cmp_lt_i32_e64 s0, -1, v135
	s_delay_alu instid0(VALU_DEP_4)
	v_dual_mov_b32 v72, v70 :: v_dual_mov_b32 v73, v70
	v_dual_mov_b32 v74, v70 :: v_dual_mov_b32 v75, v70
	;; [unrolled: 1-line block ×13, first 2 shown]
	v_dual_fma_f64 v[18:19], v[98:99], v[96:97], -v[18:19] :: v_dual_mov_b32 v141, -1
	v_dual_fma_f64 v[38:39], v[102:103], v[92:93], -v[38:39] :: v_dual_mov_b32 v142, -1
	v_dual_mov_b32 v44, v70 :: v_dual_mov_b32 v57, v70
	v_dual_mov_b32 v56, v70 :: v_dual_mov_b32 v54, v70
	;; [unrolled: 1-line block ×8, first 2 shown]
	v_dual_mul_f64 v[24:25], v[24:25], v[18:19] :: v_dual_mov_b32 v45, v70
	v_mul_f64_e32 v[30:31], v[30:31], v[18:19]
	v_mul_f64_e32 v[18:19], v[22:23], v[18:19]
	s_delay_alu instid0(VALU_DEP_3) | instskip(NEXT) | instid1(VALU_DEP_3)
	v_fmac_f64_e32 v[24:25], v[20:21], v[38:39]
	v_fmac_f64_e32 v[30:31], v[26:27], v[38:39]
	s_delay_alu instid0(VALU_DEP_3) | instskip(NEXT) | instid1(VALU_DEP_3)
	v_fmac_f64_e32 v[18:19], v[32:33], v[38:39]
	v_fmac_f64_e32 v[24:25], v[34:35], v[14:15]
	;; [unrolled: 3-line block ×3, first 2 shown]
	s_delay_alu instid0(VALU_DEP_3) | instskip(NEXT) | instid1(VALU_DEP_3)
	v_mul_f64_e32 v[110:111], v[24:25], v[12:13]
	v_mul_f64_e32 v[108:109], v[30:31], v[12:13]
	s_delay_alu instid0(VALU_DEP_3)
	v_mul_f64_e32 v[106:107], v[18:19], v[12:13]
	v_fma_f64 v[120:121], -v[24:25], v[12:13], v[0:1]
	v_fma_f64 v[118:119], -v[30:31], v[12:13], v[2:3]
	v_fma_f64 v[2:3], -v[18:19], v[12:13], v[10:11]
	v_mov_b64_e32 v[12:13], v[64:65]
	v_mov_b64_e32 v[14:15], v[66:67]
	;; [unrolled: 1-line block ×10, first 2 shown]
	v_dual_mov_b32 v10, v70 :: v_dual_mov_b32 v11, v70
	v_dual_mov_b32 v30, v70 :: v_dual_mov_b32 v31, v70
	v_mov_b64_e32 v[32:33], v[84:85]
	v_mov_b64_e32 v[34:35], v[86:87]
	;; [unrolled: 1-line block ×6, first 2 shown]
	s_and_saveexec_b32 s9, s0
	s_cbranch_execz .LBB2_10
; %bb.9:
	v_lshl_add_u32 v10, v140, 3, v134
	v_lshl_add_u32 v12, v135, 3, v134
	;; [unrolled: 1-line block ×4, first 2 shown]
	v_cmp_eq_u32_e64 s4, 1, v135
	ds_load_b64 v[10:11], v10
	ds_load_b64 v[12:13], v12
	;; [unrolled: 1-line block ×4, first 2 shown]
	v_cmp_eq_u32_e64 s5, 1, v140
	v_cmp_eq_u32_e64 s1, 1, v137
	;; [unrolled: 1-line block ×3, first 2 shown]
	v_cndmask_b32_e64 v44, v64, v66, s4
	v_cmp_eq_u32_e64 s6, 2, v135
	s_delay_alu instid0(VALU_DEP_4)
	v_dual_cndmask_b32 v40, v117, v115, s5 :: v_dual_cndmask_b32 v41, v117, v115, s1
	v_dual_cndmask_b32 v46, v64, v66, s5 :: v_dual_cndmask_b32 v49, v111, v109, s5
	v_dual_cndmask_b32 v50, v110, v108, s5 :: v_dual_cndmask_b32 v53, v121, v119, s5
	v_cndmask_b32_e64 v54, v120, v118, s5
	v_cmp_eq_u32_e64 s2, 1, v138
	v_dual_cndmask_b32 v47, v111, v109, s4 :: v_dual_cndmask_b32 v48, v110, v108, s4
	v_dual_cndmask_b32 v51, v121, v119, s4 :: v_dual_cndmask_b32 v52, v120, v118, s4
	s_wait_dscnt 0x3
	v_add_f64_e64 v[18:19], -v[10:11], 0
	s_wait_dscnt 0x2
	v_dual_add_f64 v[10:11], v[12:13], -v[10:11] :: v_dual_mov_b32 v141, 3
	s_wait_dscnt 0x1
	v_add_f64_e64 v[20:21], -v[14:15], 0
	s_wait_dscnt 0x0
	v_dual_add_f64 v[26:27], v[16:17], -v[14:15] :: v_dual_mov_b32 v142, 4
	v_cndmask_b32_e64 v42, v117, v115, s2
	v_dual_cndmask_b32 v57, v65, v67, s1 :: v_dual_cndmask_b32 v59, v64, v66, s1
	v_dual_cndmask_b32 v60, v65, v67, s2 :: v_dual_cndmask_b32 v61, v64, v66, s2
	v_dual_mov_b32 v63, v70 :: v_dual_cndmask_b32 v38, v117, v115, s4
	v_dual_mov_b32 v39, 5 :: v_dual_cndmask_b32 v43, v116, v114, s4
	;; [unrolled: 1-line block ×3, first 2 shown]
	s_delay_alu instid0(VALU_DEP_3)
	v_cndmask_b32_e64 v38, v38, v113, s6
	scratch_store_b32 off, v39, off offset:4
	v_dual_cndmask_b32 v55, v116, v114, s1 :: v_dual_cndmask_b32 v56, v116, v114, s2
	v_mov_b32_e32 v62, v70
	v_div_scale_f64 v[12:13], null, v[10:11], v[10:11], v[18:19]
	v_div_scale_f64 v[30:31], vcc_lo, v[18:19], v[10:11], v[18:19]
	v_div_scale_f64 v[16:17], null, v[26:27], v[26:27], v[20:21]
	v_div_scale_f64 v[32:33], s3, v[20:21], v[26:27], v[20:21]
	s_delay_alu instid0(VALU_DEP_4) | instskip(NEXT) | instid1(VALU_DEP_2)
	v_rcp_f64_e32 v[24:25], v[12:13]
	v_rcp_f64_e32 v[28:29], v[16:17]
	s_delay_alu instid0(TRANS32_DEP_2) | instskip(NEXT) | instid1(TRANS32_DEP_1)
	v_fma_f64 v[14:15], -v[12:13], v[24:25], 1.0
	v_fma_f64 v[22:23], -v[16:17], v[28:29], 1.0
	s_delay_alu instid0(VALU_DEP_2) | instskip(NEXT) | instid1(VALU_DEP_2)
	v_fmac_f64_e32 v[24:25], v[24:25], v[14:15]
	v_fmac_f64_e32 v[28:29], v[28:29], v[22:23]
	s_delay_alu instid0(VALU_DEP_2) | instskip(NEXT) | instid1(VALU_DEP_2)
	v_fma_f64 v[14:15], -v[12:13], v[24:25], 1.0
	v_fma_f64 v[22:23], -v[16:17], v[28:29], 1.0
	s_delay_alu instid0(VALU_DEP_2) | instskip(SKIP_1) | instid1(VALU_DEP_3)
	v_fmac_f64_e32 v[24:25], v[24:25], v[14:15]
	v_mov_b32_e32 v14, v66
	v_fmac_f64_e32 v[28:29], v[28:29], v[22:23]
	v_dual_mov_b32 v22, v70 :: v_dual_mov_b32 v23, v70
	s_delay_alu instid0(VALU_DEP_4) | instskip(NEXT) | instid1(VALU_DEP_3)
	v_mul_f64_e32 v[34:35], v[30:31], v[24:25]
	v_dual_mul_f64 v[36:37], v[32:33], v[28:29] :: v_dual_mov_b32 v15, v67
	s_delay_alu instid0(VALU_DEP_2) | instskip(SKIP_1) | instid1(VALU_DEP_3)
	v_fma_f64 v[30:31], -v[12:13], v[34:35], v[30:31]
	v_dual_mov_b32 v12, v64 :: v_dual_mov_b32 v13, v65
	v_fma_f64 v[32:33], -v[16:17], v[36:37], v[32:33]
	v_dual_mov_b32 v16, v68 :: v_dual_mov_b32 v17, v69
	s_delay_alu instid0(VALU_DEP_4)
	v_div_fmas_f64 v[30:31], v[30:31], v[24:25], v[34:35]
	v_cndmask_b32_e64 v35, v116, v114, s5
	v_dual_cndmask_b32 v34, v40, v113, s7 :: v_dual_cndmask_b32 v40, v65, v67, s4
	s_mov_b32 vcc_lo, s3
	v_cmp_eq_u32_e64 s3, 3, v140
	v_div_fmas_f64 v[28:29], v[32:33], v[28:29], v[36:37]
	v_dual_cndmask_b32 v32, v49, v107, s7 :: v_dual_cndmask_b32 v33, v50, v106, s7
	v_cmp_eq_u32_e64 s5, 4, v140
	v_cmp_eq_u32_e64 s4, 2, v137
	v_cmp_eq_u32_e32 vcc_lo, 2, v138
	v_dual_mov_b32 v24, v70 :: v_dual_mov_b32 v25, v70
	s_delay_alu instid0(VALU_DEP_3) | instskip(SKIP_2) | instid1(VALU_DEP_1)
	v_dual_mov_b32 v50, v70 :: v_dual_cndmask_b32 v41, v41, v113, s4
	v_cndmask_b32_e32 v42, v42, v113, vcc_lo
	v_cndmask_b32_e64 v32, v32, 0, s3
	v_cndmask_b32_e64 v32, v32, 0, s5
	v_div_fixup_f64 v[10:11], v[30:31], v[10:11], v[18:19]
	v_dual_cndmask_b32 v19, v35, v112, s7 :: v_dual_cndmask_b32 v30, v45, v69, s7
	v_cndmask_b32_e64 v18, v34, 0, s3
	v_dual_cndmask_b32 v31, v46, v68, s7 :: v_dual_cndmask_b32 v34, v53, v3, s7
	v_cndmask_b32_e64 v35, v54, v2, s7
	s_delay_alu instid0(VALU_DEP_4) | instskip(SKIP_1) | instid1(VALU_DEP_4)
	v_cndmask_b32_e64 v30, v30, 0, s3
	v_cndmask_b32_e64 v19, v19, 0, s3
	;; [unrolled: 1-line block ×6, first 2 shown]
	v_cmp_eq_u32_e64 s3, 5, v140
	v_cndmask_b32_e64 v30, v30, 0, s5
	v_cndmask_b32_e64 v36, v31, 0, s5
	;; [unrolled: 1-line block ×9, first 2 shown]
	v_cmp_eq_u32_e64 s5, 6, v140
	v_cndmask_b32_e64 v19, v19, 0, s3
	v_cndmask_b32_e64 v36, v36, 0, s3
	;; [unrolled: 1-line block ×7, first 2 shown]
	v_cmp_eq_u32_e64 s3, 7, v140
	v_add_f64_e64 v[30:31], -v[10:11], 1.0
	v_cndmask_b32_e64 v19, v19, 0, s5
	v_cndmask_b32_e64 v37, v37, 0, s5
	;; [unrolled: 1-line block ×8, first 2 shown]
	v_cmp_eq_u32_e64 s5, 8, v140
	v_cndmask_b32_e64 v36, v36, 0, s3
	v_cndmask_b32_e64 v45, v45, 0, s3
	;; [unrolled: 1-line block ×9, first 2 shown]
	v_cmp_eq_u32_e64 s3, 3, v135
	v_cndmask_b32_e64 v32, v18, 0, s5
	v_cndmask_b32_e64 v19, v19, 0, s5
	;; [unrolled: 1-line block ×6, first 2 shown]
	v_cmp_eq_u32_e64 s5, 4, v135
	v_div_fixup_f64 v[26:27], v[28:29], v[26:27], v[20:21]
	v_dual_cndmask_b32 v46, v110, v108, s1 :: v_dual_cndmask_b32 v49, v111, v109, s2
	v_dual_cndmask_b32 v45, v111, v109, s1 :: v_dual_mov_b32 v53, v70
	v_mul_f64_e32 v[18:19], v[18:19], v[30:31]
	v_dual_mul_f64 v[126:127], v[32:33], v[30:31] :: v_dual_cndmask_b32 v32, v110, v108, s2
	v_dual_mul_f64 v[122:123], v[34:35], v[30:31] :: v_dual_cndmask_b32 v34, v44, v68, s6
	;; [unrolled: 1-line block ×3, first 2 shown]
	v_cndmask_b32_e64 v30, v38, 0, s3
	v_dual_cndmask_b32 v33, v40, v69, s6 :: v_dual_cndmask_b32 v35, v47, v107, s6
	v_dual_cndmask_b32 v36, v48, v106, s6 :: v_dual_cndmask_b32 v37, v51, v3, s6
	v_cndmask_b32_e64 v38, v52, v2, s6
	v_cndmask_b32_e64 v31, v31, 0, s3
	;; [unrolled: 1-line block ×9, first 2 shown]
	v_cmp_eq_u32_e64 s3, 5, v135
	v_cndmask_b32_e64 v31, v31, 0, s5
	v_cndmask_b32_e64 v33, v33, 0, s5
	v_cndmask_b32_e64 v34, v34, 0, s5
	v_cndmask_b32_e64 v35, v35, 0, s5
	v_cndmask_b32_e64 v30, v30, 0, s3
	v_cndmask_b32_e64 v36, v36, 0, s5
	v_cndmask_b32_e64 v37, v37, 0, s5
	v_cndmask_b32_e64 v38, v38, 0, s5
	v_cmp_eq_u32_e64 s5, 6, v135
	v_cndmask_b32_e64 v31, v31, 0, s3
	v_cndmask_b32_e64 v33, v33, 0, s3
	;; [unrolled: 1-line block ×8, first 2 shown]
	v_cmp_eq_u32_e64 s3, 7, v135
	v_cndmask_b32_e64 v31, v31, 0, s5
	v_cmp_eq_u32_e64 s6, 8, v135
	v_cndmask_b32_e64 v33, v33, 0, s5
	v_cndmask_b32_e64 v34, v34, 0, s5
	;; [unrolled: 1-line block ×16, first 2 shown]
	v_fmac_f64_e32 v[126:127], v[30:31], v[10:11]
	v_cndmask_b32_e64 v30, v37, 0, s3
	v_cndmask_b32_e64 v31, v38, 0, s3
	v_cndmask_b32_e64 v29, v35, 0, s6
	v_cndmask_b32_e64 v28, v36, 0, s6
	v_fmac_f64_e32 v[18:19], v[20:21], v[10:11]
	v_cndmask_b32_e64 v21, v30, 0, s6
	v_cndmask_b32_e64 v20, v31, 0, s6
	;; [unrolled: 1-line block ×3, first 2 shown]
	v_fmac_f64_e32 v[122:123], v[28:29], v[10:11]
	v_dual_cndmask_b32 v28, v120, v118, s1 :: v_dual_cndmask_b32 v29, v121, v119, s2
	v_cndmask_b32_e64 v30, v120, v118, s2
	v_fmac_f64_e32 v[130:131], v[20:21], v[10:11]
	v_dual_cndmask_b32 v20, v55, v112, s4 :: v_dual_cndmask_b32 v21, v56, v112, vcc_lo
	v_dual_cndmask_b32 v31, v57, v69, s4 :: v_dual_cndmask_b32 v34, v59, v68, s4
	v_dual_cndmask_b32 v35, v60, v69 :: v_dual_cndmask_b32 v36, v61, v68
	v_dual_cndmask_b32 v40, v49, v107, vcc_lo :: v_dual_cndmask_b32 v32, v32, v106, vcc_lo
	v_dual_cndmask_b32 v33, v33, v3, s4 :: v_dual_cndmask_b32 v28, v28, v2, s4
	v_dual_cndmask_b32 v29, v29, v3 :: v_dual_cndmask_b32 v30, v30, v2
	v_cmp_eq_u32_e32 vcc_lo, 3, v137
	v_cmp_eq_u32_e64 s1, 3, v138
	v_add_f64_e64 v[10:11], -v[26:27], 1.0
	v_dual_cndmask_b32 v37, v45, v107, s4 :: v_dual_cndmask_b32 v38, v46, v106, s4
	v_cmp_eq_u32_e64 s2, 4, v137
	v_dual_cndmask_b32 v41, v41, v127 :: v_dual_cndmask_b32 v20, v20, v126
	v_dual_cndmask_b32 v42, v42, v127, s1 :: v_dual_cndmask_b32 v21, v21, v126, s1
	v_cmp_eq_u32_e64 s3, 4, v138
	v_dual_cndmask_b32 v31, v31, v19 :: v_dual_cndmask_b32 v34, v34, v18
	v_dual_cndmask_b32 v35, v35, v19, s1 :: v_dual_cndmask_b32 v36, v36, v18, s1
	v_cndmask_b32_e64 v40, v40, v123, s1
	v_dual_cndmask_b32 v32, v32, v122, s1 :: v_dual_cndmask_b32 v37, v37, v123, vcc_lo
	v_cndmask_b32_e32 v38, v38, v122, vcc_lo
	v_dual_cndmask_b32 v28, v28, v130, vcc_lo :: v_dual_cndmask_b32 v29, v29, v131, s1
	v_dual_cndmask_b32 v30, v30, v130, s1 :: v_dual_cndmask_b32 v33, v33, v131, vcc_lo
	v_cmp_eq_u32_e32 vcc_lo, 5, v137
	v_cndmask_b32_e64 v20, v20, 0, s2
	v_cndmask_b32_e64 v42, v42, 0, s3
	v_cmp_eq_u32_e64 s1, 5, v138
	v_cndmask_b32_e64 v21, v21, 0, s3
	v_cndmask_b32_e64 v31, v31, 0, s2
	;; [unrolled: 1-line block ×10, first 2 shown]
	v_cndmask_b32_e64 v45, v20, 0, vcc_lo
	v_cndmask_b32_e64 v20, v42, 0, s1
	v_cmp_eq_u32_e64 s3, 6, v138
	v_cndmask_b32_e64 v21, v21, 0, s1
	v_cndmask_b32_e64 v42, v31, 0, vcc_lo
	v_cndmask_b32_e64 v30, v35, 0, s1
	v_cndmask_b32_e64 v31, v36, 0, s1
	;; [unrolled: 1-line block ×9, first 2 shown]
	v_cmp_eq_u32_e64 s1, 7, v138
	v_cndmask_b32_e64 v21, v21, 0, s3
	v_cndmask_b32_e64 v30, v30, 0, s3
	;; [unrolled: 1-line block ×7, first 2 shown]
	v_cndmask_b32_e64 v35, v37, 0, vcc_lo
	v_cndmask_b32_e64 v36, v38, 0, vcc_lo
	v_cndmask_b32_e64 v20, v20, 0, s1
	v_cmp_eq_u32_e64 s3, 8, v138
	v_cndmask_b32_e64 v37, v21, 0, s1
	v_cndmask_b32_e64 v30, v30, 0, s1
	;; [unrolled: 1-line block ×15, first 2 shown]
	v_mul_f64_e32 v[128:129], v[10:11], v[20:21]
	v_mul_f64_e32 v[20:21], v[10:11], v[28:29]
	;; [unrolled: 1-line block ×3, first 2 shown]
	v_cndmask_b32_e64 v41, v41, 0, s2
	v_mul_f64_e32 v[132:133], v[10:11], v[32:33]
	v_cndmask_b32_e64 v34, v34, 0, s2
	v_cmp_eq_u32_e64 s2, 6, v137
	v_cndmask_b32_e64 v37, v43, 0, vcc_lo
	v_cndmask_b32_e64 v41, v41, 0, vcc_lo
	;; [unrolled: 1-line block ×4, first 2 shown]
	v_cmp_eq_u32_e32 vcc_lo, 7, v137
	v_cndmask_b32_e64 v28, v45, 0, s2
	v_cndmask_b32_e64 v11, v41, 0, s2
	;; [unrolled: 1-line block ×8, first 2 shown]
	v_cndmask_b32_e64 v11, v11, 0, vcc_lo
	v_cmp_eq_u32_e64 s1, 8, v137
	v_cndmask_b32_e64 v28, v28, 0, vcc_lo
	v_cndmask_b32_e64 v29, v29, 0, vcc_lo
	;; [unrolled: 1-line block ×7, first 2 shown]
	v_cndmask_b32_e64 v11, v11, 0, s1
	v_cndmask_b32_e64 v10, v28, 0, s1
	;; [unrolled: 1-line block ×8, first 2 shown]
	v_fmac_f64_e32 v[128:129], v[26:27], v[10:11]
	v_fmac_f64_e32 v[20:21], v[26:27], v[28:29]
	;; [unrolled: 1-line block ×3, first 2 shown]
	v_dual_mov_b32 v28, v70 :: v_dual_mov_b32 v29, v70
	v_fmac_f64_e32 v[132:133], v[26:27], v[32:33]
	v_dual_mov_b32 v26, v70 :: v_dual_mov_b32 v27, v70
	v_dual_mov_b32 v55, v70 :: v_dual_mov_b32 v60, v70
	;; [unrolled: 1-line block ×10, first 2 shown]
	v_mov_b32_e32 v61, v70
.LBB2_10:
	s_wait_xcnt 0x0
	s_or_b32 exec_lo, exec_lo, s9
	s_mov_b32 s1, 0
	scratch_store_b32 off, v139, off
	s_branch .LBB2_12
.LBB2_11:                               ;   in Loop: Header=BB2_12 Depth=1
	s_wait_xcnt 0x0
	s_or_b32 exec_lo, exec_lo, s3
	s_wait_dscnt 0x0
	v_cmp_gt_i32_e32 vcc_lo, 0, v32
	v_mov_b32_e32 v70, v32
	s_or_b32 s1, vcc_lo, s1
	s_delay_alu instid0(SALU_CYCLE_1)
	s_and_not1_b32 exec_lo, exec_lo, s1
	s_cbranch_execz .LBB2_18
.LBB2_12:                               ; =>This Inner Loop Header: Depth=1
	s_delay_alu instid0(VALU_DEP_1) | instskip(SKIP_2) | instid1(VALU_DEP_1)
	v_lshlrev_b32_e32 v32, 2, v70
	s_mov_b32 s2, 0
	s_mov_b32 s3, exec_lo
	v_add_nc_u32_e32 v33, v134, v32
	s_delay_alu instid0(VALU_DEP_1)
	v_add_nc_u32_e32 v32, v33, v32
	ds_load_b64 v[34:35], v32
	ds_load_b32 v32, v33 offset:40
	s_wait_dscnt 0x1
	s_wait_xcnt 0x0
	v_cmpx_ngt_f64_e32 0, v[34:35]
	s_xor_b32 s3, exec_lo, s3
	s_cbranch_execnz .LBB2_15
; %bb.13:                               ;   in Loop: Header=BB2_12 Depth=1
	s_or_saveexec_b32 s3, s3
	v_mov_b32_e32 v34, 0
	s_xor_b32 exec_lo, exec_lo, s3
	s_cbranch_execnz .LBB2_16
.LBB2_14:                               ;   in Loop: Header=BB2_12 Depth=1
	s_or_b32 exec_lo, exec_lo, s3
	s_and_saveexec_b32 s3, s2
	s_cbranch_execz .LBB2_11
	s_branch .LBB2_17
.LBB2_15:                               ;   in Loop: Header=BB2_12 Depth=1
	scratch_load_b32 v33, off, off
	s_wait_loadcnt 0x0
	v_cmp_eq_u32_e32 vcc_lo, -1, v33
                                        ; implicit-def: $vgpr33
	s_and_b32 s2, vcc_lo, exec_lo
	s_wait_xcnt 0x0
	s_or_saveexec_b32 s3, s3
	v_mov_b32_e32 v34, 0
	s_xor_b32 exec_lo, exec_lo, s3
	s_cbranch_execz .LBB2_14
.LBB2_16:                               ;   in Loop: Header=BB2_12 Depth=1
	scratch_load_b32 v35, off, off offset:4
	v_mov_b32_e32 v34, 4
	s_or_b32 s2, s2, exec_lo
	s_wait_loadcnt 0x0
	ds_store_b32 v33, v35 offset:40
	s_wait_xcnt 0x0
	s_or_b32 exec_lo, exec_lo, s3
	s_and_saveexec_b32 s3, s2
	s_cbranch_execz .LBB2_11
.LBB2_17:                               ;   in Loop: Header=BB2_12 Depth=1
	scratch_store_b32 v34, v70, off
	s_branch .LBB2_11
.LBB2_18:
	s_or_b32 exec_lo, exec_lo, s1
	s_and_saveexec_b32 s1, s0
	s_cbranch_execz .LBB2_20
; %bb.19:
	v_cmp_gt_f64_e32 vcc_lo, 0, v[0:1]
	v_lshl_add_u32 v32, v135, 2, v134
	v_lshl_add_u32 v1, v141, 2, v134
	;; [unrolled: 1-line block ×3, first 2 shown]
	s_or_b32 s0, s8, vcc_lo
	s_delay_alu instid0(SALU_CYCLE_1)
	v_cndmask_b32_e64 v33, v136, -1, s0
	ds_store_b32 v32, v141 offset:40
	ds_store_b32 v1, v142 offset:40
	;; [unrolled: 1-line block ×3, first 2 shown]
.LBB2_20:
	s_or_b32 exec_lo, exec_lo, s1
	scratch_load_b32 v38, off, off
	v_mov_b64_e32 v[34:35], -1
	s_mov_b32 s27, 0
	v_dual_mov_b32 v39, -1 :: v_dual_mov_b32 v40, -1
	s_wait_loadcnt 0x0
	v_cmp_eq_u32_e32 vcc_lo, 1, v38
	v_cmp_eq_u32_e64 s0, 2, v38
	v_dual_cndmask_b32 v0, v117, v115 :: v_dual_cndmask_b32 v1, v116, v114
	v_cmp_eq_u32_e32 vcc_lo, 3, v38
	s_delay_alu instid0(VALU_DEP_2) | instskip(SKIP_1) | instid1(VALU_DEP_2)
	v_dual_cndmask_b32 v0, v0, v113, s0 :: v_dual_cndmask_b32 v1, v1, v112, s0
	v_cmp_lt_i32_e64 s0, -1, v38
	v_dual_cndmask_b32 v0, v0, v127 :: v_dual_cndmask_b32 v1, v1, v126
	v_cmp_eq_u32_e32 vcc_lo, 4, v38
	s_delay_alu instid0(VALU_DEP_2) | instskip(SKIP_1) | instid1(VALU_DEP_2)
	v_dual_cndmask_b32 v0, v0, v129 :: v_dual_cndmask_b32 v1, v1, v128
	v_cmp_eq_u32_e32 vcc_lo, 5, v38
	v_dual_cndmask_b32 v0, v0, v55 :: v_dual_cndmask_b32 v1, v1, v58
	v_cmp_eq_u32_e32 vcc_lo, 6, v38
	s_delay_alu instid0(VALU_DEP_2) | instskip(SKIP_1) | instid1(VALU_DEP_2)
	v_dual_cndmask_b32 v0, v0, v53 :: v_dual_cndmask_b32 v1, v1, v60
	v_cmp_eq_u32_e32 vcc_lo, 7, v38
	v_dual_cndmask_b32 v0, v0, v51, vcc_lo :: v_dual_cndmask_b32 v32, v1, v62, vcc_lo
	v_cmp_eq_u32_e32 vcc_lo, 8, v38
	s_delay_alu instid0(VALU_DEP_2) | instskip(NEXT) | instid1(VALU_DEP_3)
	v_cndmask_b32_e32 v1, v0, v31, vcc_lo
	v_cndmask_b32_e32 v0, v32, v30, vcc_lo
	v_mov_b64_e32 v[32:33], -1
	s_wait_xcnt 0x0
	s_and_saveexec_b32 s5, s0
	s_cbranch_execz .LBB2_24
; %bb.21:
	v_mov_b64_e32 v[36:37], v[0:1]
	v_dual_mov_b32 v39, -1 :: v_dual_mov_b32 v33, v38
	v_dual_mov_b32 v32, -1 :: v_dual_mov_b32 v34, -1
	v_mov_b32_e32 v40, -1
	s_mov_b32 s6, 0
                                        ; implicit-def: $sgpr7
.LBB2_22:                               ; =>This Inner Loop Header: Depth=1
	s_delay_alu instid0(VALU_DEP_3)
	v_lshl_add_u32 v35, v33, 2, v134
	v_cmp_le_f64_e32 vcc_lo, 0, v[36:37]
	v_cmp_gt_f64_e64 s1, 0, v[36:37]
	ds_load_b32 v35, v35 offset:40
	s_wait_dscnt 0x0
	v_cmp_gt_i32_e64 s2, 0, v35
	s_delay_alu instid0(VALU_DEP_1) | instskip(NEXT) | instid1(VALU_DEP_1)
	v_cndmask_b32_e64 v41, v35, v38, s2
	v_cmp_eq_u32_e64 s3, 1, v41
	s_delay_alu instid0(VALU_DEP_1) | instskip(SKIP_3) | instid1(VALU_DEP_2)
	v_cndmask_b32_e64 v36, v117, v115, s3
	v_cmp_eq_u32_e64 s4, 2, v41
	v_cndmask_b32_e64 v37, v116, v114, s3
	v_cmp_eq_u32_e64 s3, 3, v41
	v_dual_cndmask_b32 v36, v36, v113, s4 :: v_dual_cndmask_b32 v37, v37, v112, s4
	s_delay_alu instid0(VALU_DEP_1) | instskip(SKIP_1) | instid1(VALU_DEP_1)
	v_dual_cndmask_b32 v36, v36, v127, s3 :: v_dual_cndmask_b32 v37, v37, v126, s3
	v_cmp_eq_u32_e64 s3, 4, v41
	v_dual_cndmask_b32 v36, v36, v129, s3 :: v_dual_cndmask_b32 v37, v37, v128, s3
	v_cmp_eq_u32_e64 s3, 5, v41
	s_delay_alu instid0(VALU_DEP_1) | instskip(SKIP_1) | instid1(VALU_DEP_1)
	v_dual_cndmask_b32 v36, v36, v55, s3 :: v_dual_cndmask_b32 v37, v37, v58, s3
	v_cmp_eq_u32_e64 s3, 6, v41
	v_dual_cndmask_b32 v36, v36, v53, s3 :: v_dual_cndmask_b32 v37, v37, v60, s3
	v_cmp_eq_u32_e64 s3, 7, v41
	s_delay_alu instid0(VALU_DEP_1) | instskip(SKIP_1) | instid1(VALU_DEP_1)
	v_dual_cndmask_b32 v36, v36, v51, s3 :: v_dual_cndmask_b32 v42, v37, v62, s3
	v_cmp_eq_u32_e64 s3, 8, v41
	v_dual_cndmask_b32 v37, v36, v31, s3 :: v_dual_cndmask_b32 v36, v42, v30, s3
	s_delay_alu instid0(VALU_DEP_1) | instskip(SKIP_3) | instid1(SALU_CYCLE_1)
	v_cmp_gt_f64_e64 s3, 0, v[36:37]
	v_cmp_le_f64_e64 s4, 0, v[36:37]
	s_and_b32 vcc_lo, vcc_lo, s3
	s_and_b32 s3, s1, s4
	v_dual_cndmask_b32 v34, v34, v41, vcc_lo :: v_dual_cndmask_b32 v40, v40, v41, s3
	v_dual_cndmask_b32 v39, v39, v33, vcc_lo :: v_dual_cndmask_b32 v32, v32, v33, s3
	s_or_b32 s6, s2, s6
	v_mov_b32_e32 v33, v35
	s_and_not1_b32 s2, s7, exec_lo
	s_and_b32 s1, s1, exec_lo
	s_delay_alu instid0(SALU_CYCLE_1)
	s_or_b32 s7, s2, s1
	s_and_not1_b32 exec_lo, exec_lo, s6
	s_cbranch_execnz .LBB2_22
; %bb.23:
	s_or_b32 exec_lo, exec_lo, s6
	s_delay_alu instid0(SALU_CYCLE_1)
	s_and_b32 s27, s7, exec_lo
.LBB2_24:
	s_or_b32 exec_lo, exec_lo, s5
	v_dual_mov_b32 v35, -1 :: v_dual_mov_b32 v33, -1
	v_cmp_lt_i32_e64 s1, -1, v39
	v_mov_b32_e32 v36, -1
	s_and_saveexec_b32 s30, s1
	s_cbranch_execz .LBB2_26
; %bb.25:
	v_cmp_eq_u32_e64 s9, 1, v34
	v_cmp_eq_u32_e64 s10, 2, v34
	;; [unrolled: 1-line block ×5, first 2 shown]
	v_cndmask_b32_e64 v33, v117, v115, s9
	v_cmp_eq_u32_e64 s14, 6, v34
	v_cmp_eq_u32_e64 s15, 7, v34
	;; [unrolled: 1-line block ×3, first 2 shown]
	s_delay_alu instid0(VALU_DEP_4) | instskip(SKIP_3) | instid1(VALU_DEP_4)
	v_dual_cndmask_b32 v34, v116, v114, s9 :: v_dual_cndmask_b32 v33, v33, v113, s10
	v_cmp_eq_u32_e64 s17, 1, v39
	v_cmp_eq_u32_e64 s18, 2, v39
	v_cmp_eq_u32_e64 s19, 3, v39
	v_dual_cndmask_b32 v34, v34, v112, s10 :: v_dual_cndmask_b32 v33, v33, v127, s11
	v_cmp_eq_u32_e64 s20, 4, v39
	v_cmp_eq_u32_e64 s21, 5, v39
	;; [unrolled: 1-line block ×3, first 2 shown]
	s_delay_alu instid0(VALU_DEP_4) | instskip(SKIP_2) | instid1(VALU_DEP_3)
	v_dual_cndmask_b32 v34, v34, v126, s11 :: v_dual_cndmask_b32 v33, v33, v129, s12
	v_cmp_eq_u32_e64 s23, 7, v39
	v_cmp_eq_u32_e64 s24, 8, v39
	v_dual_cndmask_b32 v34, v34, v128, s12 :: v_dual_cndmask_b32 v33, v33, v55, s13
	s_delay_alu instid0(VALU_DEP_1) | instskip(NEXT) | instid1(VALU_DEP_1)
	v_dual_cndmask_b32 v34, v34, v58, s13 :: v_dual_cndmask_b32 v33, v33, v53, s14
	v_dual_cndmask_b32 v34, v34, v60, s14 :: v_dual_cndmask_b32 v33, v33, v51, s15
	s_delay_alu instid0(VALU_DEP_1) | instskip(NEXT) | instid1(VALU_DEP_1)
	v_dual_cndmask_b32 v34, v34, v62, s15 :: v_dual_cndmask_b32 v37, v33, v31, s16
	v_dual_cndmask_b32 v33, v117, v115, s17 :: v_dual_cndmask_b32 v36, v34, v30, s16
	s_delay_alu instid0(VALU_DEP_1) | instskip(NEXT) | instid1(VALU_DEP_2)
	v_dual_cndmask_b32 v34, v116, v114, s17 :: v_dual_cndmask_b32 v33, v33, v113, s18
	v_add_f64_e64 v[64:65], -v[36:37], 0
	s_delay_alu instid0(VALU_DEP_2) | instskip(NEXT) | instid1(VALU_DEP_1)
	v_dual_cndmask_b32 v34, v34, v112, s18 :: v_dual_cndmask_b32 v33, v33, v127, s19
	v_dual_cndmask_b32 v34, v34, v126, s19 :: v_dual_cndmask_b32 v33, v33, v129, s20
	s_delay_alu instid0(VALU_DEP_1) | instskip(NEXT) | instid1(VALU_DEP_1)
	v_dual_cndmask_b32 v34, v34, v128, s20 :: v_dual_cndmask_b32 v33, v33, v55, s21
	v_dual_cndmask_b32 v34, v34, v58, s21 :: v_dual_cndmask_b32 v33, v33, v53, s22
	s_delay_alu instid0(VALU_DEP_1) | instskip(NEXT) | instid1(VALU_DEP_1)
	v_dual_cndmask_b32 v34, v34, v60, s22 :: v_dual_cndmask_b32 v33, v33, v51, s23
	v_dual_cndmask_b32 v34, v34, v62, s23 :: v_dual_cndmask_b32 v43, v33, v31, s24
	scratch_load_b32 v33, off, off offset:4
	v_cndmask_b32_e64 v42, v34, v30, s24
	s_delay_alu instid0(VALU_DEP_1) | instskip(NEXT) | instid1(VALU_DEP_1)
	v_add_f64_e64 v[66:67], v[42:43], -v[36:37]
	v_div_scale_f64 v[68:69], null, v[66:67], v[66:67], v[64:65]
	s_delay_alu instid0(VALU_DEP_1) | instskip(SKIP_1) | instid1(TRANS32_DEP_1)
	v_rcp_f64_e32 v[70:71], v[68:69]
	v_nop
	v_fma_f64 v[72:73], -v[68:69], v[70:71], 1.0
	s_delay_alu instid0(VALU_DEP_1) | instskip(NEXT) | instid1(VALU_DEP_1)
	v_fmac_f64_e32 v[70:71], v[70:71], v[72:73]
	v_fma_f64 v[72:73], -v[68:69], v[70:71], 1.0
	s_delay_alu instid0(VALU_DEP_1) | instskip(SKIP_1) | instid1(VALU_DEP_1)
	v_fmac_f64_e32 v[70:71], v[70:71], v[72:73]
	v_div_scale_f64 v[72:73], vcc_lo, v[64:65], v[66:67], v[64:65]
	v_mul_f64_e32 v[74:75], v[72:73], v[70:71]
	s_wait_loadcnt 0x0
	v_cmp_eq_u32_e64 s25, 7, v33
	s_delay_alu instid0(VALU_DEP_2)
	v_fma_f64 v[68:69], -v[68:69], v[74:75], v[72:73]
	v_cmp_eq_u32_e64 s5, 2, v33
	v_cmp_eq_u32_e64 s8, 4, v33
	;; [unrolled: 1-line block ×7, first 2 shown]
	v_div_fmas_f64 v[68:69], v[68:69], v[70:71], v[74:75]
	v_cmp_eq_u32_e32 vcc_lo, 8, v33
	s_delay_alu instid0(VALU_DEP_2) | instskip(NEXT) | instid1(VALU_DEP_1)
	v_div_fixup_f64 v[64:65], v[68:69], v[66:67], v[64:65]
	v_add_f64_e64 v[66:67], -v[64:65], 1.0
	s_delay_alu instid0(VALU_DEP_1) | instskip(NEXT) | instid1(VALU_DEP_1)
	v_mul_f64_e32 v[36:37], v[36:37], v[66:67]
	v_fmac_f64_e32 v[36:37], v[42:43], v[64:65]
	s_delay_alu instid0(VALU_DEP_1) | instskip(SKIP_2) | instid1(VALU_DEP_3)
	v_dual_cndmask_b32 v34, v30, v36, vcc_lo :: v_dual_cndmask_b32 v30, v13, v15, s9
	v_dual_cndmask_b32 v41, v62, v36, s25 :: v_dual_cndmask_b32 v60, v60, v36, s3
	v_dual_cndmask_b32 v58, v58, v36, s2 :: v_dual_cndmask_b32 v62, v12, v14, s17
	;; [unrolled: 1-line block ×4, first 2 shown]
	s_delay_alu instid0(VALU_DEP_3) | instskip(NEXT) | instid1(VALU_DEP_3)
	v_cndmask_b32_e64 v62, v62, v16, s18
	v_cndmask_b32_e64 v30, v30, v19, s11
	s_delay_alu instid0(VALU_DEP_4) | instskip(SKIP_1) | instid1(VALU_DEP_4)
	v_cndmask_b32_e64 v42, v42, v16, s10
	v_dual_cndmask_b32 v71, v116, v36, s7 :: v_dual_cndmask_b32 v138, v31, v37, vcc_lo
	v_cndmask_b32_e64 v62, v62, v18, s19
	s_delay_alu instid0(VALU_DEP_4) | instskip(SKIP_2) | instid1(VALU_DEP_4)
	v_cndmask_b32_e64 v30, v30, v21, s12
	v_cndmask_b32_e64 v51, v51, v37, s25
	v_dual_cndmask_b32 v115, v115, v37, s6 :: v_dual_cndmask_b32 v129, v129, v37, s8
	v_cndmask_b32_e64 v62, v62, v20, s20
	s_delay_alu instid0(VALU_DEP_4) | instskip(SKIP_1) | instid1(VALU_DEP_3)
	v_dual_cndmask_b32 v30, v30, v23, s13 :: v_dual_cndmask_b32 v127, v127, v37, s4
	v_cndmask_b32_e64 v117, v117, v37, s7
	v_dual_cndmask_b32 v37, v113, v37, s5 :: v_dual_cndmask_b32 v62, v62, v22, s21
	s_delay_alu instid0(VALU_DEP_3) | instskip(NEXT) | instid1(VALU_DEP_2)
	v_cndmask_b32_e64 v30, v30, v25, s14
	v_cndmask_b32_e64 v62, v62, v24, s22
	s_delay_alu instid0(VALU_DEP_2) | instskip(NEXT) | instid1(VALU_DEP_2)
	v_cndmask_b32_e64 v30, v30, v27, s15
	v_cndmask_b32_e64 v62, v62, v26, s23
	s_delay_alu instid0(VALU_DEP_2) | instskip(SKIP_1) | instid1(VALU_DEP_3)
	v_dual_cndmask_b32 v43, v30, v29, s16 :: v_dual_cndmask_b32 v30, v13, v15, s17
	v_cndmask_b32_e64 v42, v42, v18, s11
	v_cndmask_b32_e64 v68, v62, v28, s24
	s_delay_alu instid0(VALU_DEP_3) | instskip(NEXT) | instid1(VALU_DEP_3)
	v_dual_cndmask_b32 v62, v128, v36, s8 :: v_dual_cndmask_b32 v30, v30, v17, s18
	v_cndmask_b32_e64 v42, v42, v20, s12
	s_delay_alu instid0(VALU_DEP_2) | instskip(NEXT) | instid1(VALU_DEP_2)
	v_cndmask_b32_e64 v30, v30, v19, s19
	v_cndmask_b32_e64 v42, v42, v22, s13
	s_delay_alu instid0(VALU_DEP_2) | instskip(NEXT) | instid1(VALU_DEP_2)
	v_cndmask_b32_e64 v30, v30, v21, s20
	;; [unrolled: 3-line block ×5, first 2 shown]
	v_mul_f64_e32 v[42:43], v[42:43], v[66:67]
	s_delay_alu instid0(VALU_DEP_2) | instskip(NEXT) | instid1(VALU_DEP_1)
	v_cndmask_b32_e64 v69, v30, v29, s24
	v_fmac_f64_e32 v[42:43], v[68:69], v[64:65]
	v_dual_cndmask_b32 v68, v126, v36, s4 :: v_dual_cndmask_b32 v69, v112, v36, s5
	s_delay_alu instid0(VALU_DEP_2) | instskip(NEXT) | instid1(VALU_DEP_3)
	v_dual_cndmask_b32 v80, v12, v42, s7 :: v_dual_cndmask_b32 v12, v111, v109, s9
	v_dual_cndmask_b32 v137, v13, v43, s7 :: v_dual_cndmask_b32 v136, v15, v43, s6
	;; [unrolled: 1-line block ×3, first 2 shown]
	s_delay_alu instid0(VALU_DEP_3) | instskip(SKIP_2) | instid1(VALU_DEP_3)
	v_dual_cndmask_b32 v12, v12, v107, s10 :: v_dual_cndmask_b32 v73, v26, v42, s25
	v_dual_cndmask_b32 v128, v19, v43, s4 :: v_dual_cndmask_b32 v76, v20, v42, s8
	v_cndmask_b32_e64 v116, v23, v43, s2
	v_cndmask_b32_e64 v12, v12, v123, s11
	v_dual_cndmask_b32 v126, v21, v43, s8 :: v_dual_cndmask_b32 v74, v24, v42, s3
	v_dual_cndmask_b32 v112, v27, v43, s25 :: v_dual_cndmask_b32 v72, v28, v42, vcc_lo
	s_delay_alu instid0(VALU_DEP_3) | instskip(NEXT) | instid1(VALU_DEP_1)
	v_dual_cndmask_b32 v12, v12, v125, s12 :: v_dual_cndmask_b32 v77, v18, v42, s4
	v_dual_cndmask_b32 v81, v29, v43, vcc_lo :: v_dual_cndmask_b32 v12, v12, v45, s13
	s_delay_alu instid0(VALU_DEP_1) | instskip(NEXT) | instid1(VALU_DEP_1)
	v_dual_cndmask_b32 v79, v14, v42, s6 :: v_dual_cndmask_b32 v12, v12, v49, s14
	v_dual_cndmask_b32 v13, v110, v108, s9 :: v_dual_cndmask_b32 v12, v12, v59, s15
	s_delay_alu instid0(VALU_DEP_1) | instskip(SKIP_1) | instid1(VALU_DEP_2)
	v_dual_cndmask_b32 v70, v114, v36, s6 :: v_dual_cndmask_b32 v13, v13, v106, s10
	v_cndmask_b32_e64 v114, v25, v43, s3
	v_cndmask_b32_e64 v13, v13, v122, s11
	s_delay_alu instid0(VALU_DEP_1) | instskip(NEXT) | instid1(VALU_DEP_1)
	v_dual_cndmask_b32 v75, v22, v42, s2 :: v_dual_cndmask_b32 v13, v13, v124, s12
	v_cndmask_b32_e64 v13, v13, v10, s13
	s_delay_alu instid0(VALU_DEP_1) | instskip(NEXT) | instid1(VALU_DEP_1)
	v_cndmask_b32_e64 v13, v13, v48, s14
	v_dual_cndmask_b32 v14, v13, v46, s15 :: v_dual_cndmask_b32 v13, v12, v57, s16
	s_delay_alu instid0(VALU_DEP_1) | instskip(NEXT) | instid1(VALU_DEP_1)
	v_dual_cndmask_b32 v12, v14, v44, s16 :: v_dual_cndmask_b32 v14, v111, v109, s17
	v_dual_mul_f64 v[12:13], v[12:13], v[66:67] :: v_dual_cndmask_b32 v15, v110, v108, s17
	s_delay_alu instid0(VALU_DEP_1) | instskip(NEXT) | instid1(VALU_DEP_1)
	v_dual_cndmask_b32 v14, v14, v107, s18 :: v_dual_cndmask_b32 v15, v15, v106, s18
	v_dual_cndmask_b32 v14, v14, v123, s19 :: v_dual_cndmask_b32 v15, v15, v122, s19
	s_delay_alu instid0(VALU_DEP_1) | instskip(NEXT) | instid1(VALU_DEP_1)
	v_dual_cndmask_b32 v14, v14, v125, s20 :: v_dual_cndmask_b32 v15, v15, v124, s20
	v_dual_cndmask_b32 v14, v14, v45, s21 :: v_dual_cndmask_b32 v15, v15, v10, s21
	s_delay_alu instid0(VALU_DEP_1) | instskip(NEXT) | instid1(VALU_DEP_1)
	v_dual_cndmask_b32 v14, v14, v49, s22 :: v_dual_cndmask_b32 v15, v15, v48, s22
	v_dual_cndmask_b32 v14, v14, v59, s23 :: v_dual_cndmask_b32 v16, v15, v46, s23
	s_delay_alu instid0(VALU_DEP_1) | instskip(SKIP_1) | instid1(VALU_DEP_2)
	v_dual_cndmask_b32 v15, v14, v57, s24 :: v_dual_cndmask_b32 v14, v16, v44, s24
	v_cndmask_b32_e64 v16, v120, v118, s17
	v_fmac_f64_e32 v[12:13], v[14:15], v[64:65]
	v_cndmask_b32_e64 v14, v120, v118, s9
	s_delay_alu instid0(VALU_DEP_1) | instskip(NEXT) | instid1(VALU_DEP_1)
	v_dual_cndmask_b32 v16, v16, v2, s18 :: v_dual_cndmask_b32 v14, v14, v2, s10
	v_cndmask_b32_e64 v16, v16, v130, s19
	s_delay_alu instid0(VALU_DEP_1) | instskip(NEXT) | instid1(VALU_DEP_1)
	v_cndmask_b32_e64 v16, v16, v132, s20
	v_cndmask_b32_e64 v16, v16, v56, s21
	s_delay_alu instid0(VALU_DEP_1) | instskip(NEXT) | instid1(VALU_DEP_1)
	v_cndmask_b32_e64 v16, v16, v54, s22
	v_cndmask_b32_e64 v16, v16, v52, s23
	v_dual_cndmask_b32 v48, v48, v12, s3 :: v_dual_cndmask_b32 v139, v10, v12, s2
	v_cndmask_b32_e64 v10, v121, v119, s9
	s_delay_alu instid0(VALU_DEP_3) | instskip(SKIP_2) | instid1(VALU_DEP_4)
	v_dual_cndmask_b32 v45, v45, v13, s2 :: v_dual_cndmask_b32 v16, v16, v50, s24
	v_cmp_eq_u32_e64 s9, 3, v40
	v_dual_cndmask_b32 v44, v44, v12, vcc_lo :: v_dual_cndmask_b32 v46, v46, v12, s25
	v_cndmask_b32_e64 v10, v10, v3, s10
	v_cmp_eq_u32_e64 s10, 4, v40
	v_dual_cndmask_b32 v57, v57, v13, vcc_lo :: v_dual_cndmask_b32 v123, v123, v13, s4
	s_delay_alu instid0(VALU_DEP_3) | instskip(SKIP_2) | instid1(VALU_DEP_3)
	v_dual_cndmask_b32 v109, v109, v13, s6 :: v_dual_cndmask_b32 v10, v10, v131, s11
	v_dual_cndmask_b32 v108, v108, v12, s6 :: v_dual_cndmask_b32 v59, v59, v13, s25
	;; [unrolled: 1-line block ×3, first 2 shown]
	v_cndmask_b32_e64 v10, v10, v133, s12
	v_cndmask_b32_e64 v110, v110, v12, s7
	s_delay_alu instid0(VALU_DEP_2) | instskip(NEXT) | instid1(VALU_DEP_1)
	v_cndmask_b32_e64 v10, v10, v11, s13
	v_cndmask_b32_e64 v10, v10, v47, s14
	s_delay_alu instid0(VALU_DEP_1) | instskip(NEXT) | instid1(VALU_DEP_1)
	v_cndmask_b32_e64 v10, v10, v63, s15
	v_dual_cndmask_b32 v15, v10, v61, s16 :: v_dual_cndmask_b32 v10, v121, v119, s17
	v_cndmask_b32_e64 v14, v14, v130, s11
	v_cmp_eq_u32_e64 s17, 4, v32
	v_cmp_eq_u32_e64 s11, 5, v40
	s_delay_alu instid0(VALU_DEP_4) | instskip(NEXT) | instid1(VALU_DEP_4)
	v_cndmask_b32_e64 v10, v10, v3, s18
	v_cndmask_b32_e64 v14, v14, v132, s12
	v_cmp_eq_u32_e64 s18, 5, v32
	v_cmp_eq_u32_e64 s12, 6, v40
	s_delay_alu instid0(VALU_DEP_4) | instskip(NEXT) | instid1(VALU_DEP_4)
	v_cndmask_b32_e64 v10, v10, v131, s19
	;; [unrolled: 5-line block ×6, first 2 shown]
	v_mul_f64_e32 v[14:15], v[14:15], v[66:67]
	v_cmp_eq_u32_e64 s23, 2, v40
	s_delay_alu instid0(VALU_DEP_3) | instskip(SKIP_1) | instid1(VALU_DEP_1)
	v_dual_cndmask_b32 v17, v10, v61, s24 :: v_dual_cndmask_b32 v10, v117, v115, s15
	v_cmp_eq_u32_e64 s24, 1, v40
	v_cndmask_b32_e64 v18, v71, v70, s24
	s_delay_alu instid0(VALU_DEP_3) | instskip(SKIP_4) | instid1(VALU_DEP_4)
	v_fmac_f64_e32 v[14:15], v[16:17], v[64:65]
	v_dual_cndmask_b32 v16, v71, v70, s15 :: v_dual_cndmask_b32 v17, v117, v115, s24
	v_cndmask_b32_e64 v10, v10, v37, s16
	v_cndmask_b32_e64 v111, v111, v13, s7
	v_cndmask_b32_e64 v107, v107, v13, s5
	v_cndmask_b32_e64 v16, v16, v69, s16
	v_cndmask_b32_e64 v17, v17, v37, s23
	v_cndmask_b32_e64 v18, v18, v69, s23
	s_delay_alu instid0(VALU_DEP_3) | instskip(NEXT) | instid1(VALU_DEP_2)
	v_dual_cndmask_b32 v10, v10, v127, s22 :: v_dual_cndmask_b32 v16, v16, v68, s22
	v_dual_cndmask_b32 v17, v17, v127, s9 :: v_dual_cndmask_b32 v18, v18, v68, s9
	s_delay_alu instid0(VALU_DEP_2) | instskip(NEXT) | instid1(VALU_DEP_2)
	v_dual_cndmask_b32 v10, v10, v129, s17 :: v_dual_cndmask_b32 v16, v16, v62, s17
	v_dual_cndmask_b32 v17, v17, v129, s10 :: v_dual_cndmask_b32 v18, v18, v62, s10
	s_delay_alu instid0(VALU_DEP_2) | instskip(NEXT) | instid1(VALU_DEP_2)
	;; [unrolled: 3-line block ×3, first 2 shown]
	v_dual_cndmask_b32 v10, v10, v53, s19 :: v_dual_cndmask_b32 v16, v16, v60, s19
	v_dual_cndmask_b32 v17, v17, v53, s12 :: v_dual_cndmask_b32 v18, v18, v60, s12
	s_delay_alu instid0(VALU_DEP_2) | instskip(SKIP_1) | instid1(VALU_DEP_3)
	v_dual_cndmask_b32 v10, v10, v51, s20 :: v_dual_cndmask_b32 v16, v16, v41, s20
	v_cndmask_b32_e32 v50, v50, v14, vcc_lo
	v_dual_cndmask_b32 v54, v54, v14, s3 :: v_dual_cndmask_b32 v19, v17, v51, s13
	s_delay_alu instid0(VALU_DEP_3) | instskip(NEXT) | instid1(VALU_DEP_4)
	v_dual_cndmask_b32 v18, v18, v41, s13 :: v_dual_cndmask_b32 v16, v16, v34, s21
	v_dual_cndmask_b32 v17, v10, v138, s21 :: v_dual_cndmask_b32 v32, v47, v15, s3
	s_delay_alu instid0(VALU_DEP_3) | instskip(NEXT) | instid1(VALU_DEP_3)
	v_cndmask_b32_e64 v19, v19, v138, s14
	v_cndmask_b32_e64 v18, v18, v34, s14
	;; [unrolled: 1-line block ×3, first 2 shown]
	s_delay_alu instid0(VALU_DEP_4) | instskip(SKIP_1) | instid1(VALU_DEP_4)
	v_add_f64_e64 v[20:21], -v[16:17], 0
	v_dual_cndmask_b32 v61, v61, v15, vcc_lo :: v_dual_cndmask_b32 v47, v122, v12, s4
	v_add_f64_e64 v[22:23], v[18:19], -v[16:17]
	v_dual_cndmask_b32 v141, v11, v15, s2 :: v_dual_cndmask_b32 v133, v133, v15, s8
	v_cndmask_b32_e64 v142, v3, v15, s5
	v_dual_cndmask_b32 v119, v119, v15, s6 :: v_dual_cndmask_b32 v10, v137, v136, s15
	v_dual_cndmask_b32 v3, v80, v79, s24 :: v_dual_cndmask_b32 v11, v80, v79, s15
	;; [unrolled: 1-line block ×4, first 2 shown]
	s_delay_alu instid0(VALU_DEP_3) | instskip(SKIP_1) | instid1(VALU_DEP_2)
	v_dual_cndmask_b32 v10, v10, v135, s16 :: v_dual_cndmask_b32 v11, v11, v78, s16
	v_dual_cndmask_b32 v118, v118, v14, s6 :: v_dual_cndmask_b32 v120, v120, v14, s7
	;; [unrolled: 1-line block ×3, first 2 shown]
	s_delay_alu instid0(VALU_DEP_3) | instskip(SKIP_3) | instid1(VALU_DEP_2)
	v_dual_cndmask_b32 v11, v11, v77, s22 :: v_dual_cndmask_b32 v56, v56, v14, s2
	v_dual_cndmask_b32 v63, v63, v15, s25 :: v_dual_cndmask_b32 v122, v125, v13, s8
	;; [unrolled: 1-line block ×5, first 2 shown]
	s_delay_alu instid0(VALU_DEP_2) | instskip(NEXT) | instid1(VALU_DEP_2)
	v_dual_cndmask_b32 v15, v15, v106, s16 :: v_dual_cndmask_b32 v13, v13, v106, s23
	v_cndmask_b32_e64 v11, v11, v75, s18
	v_div_scale_f64 v[24:25], null, v[22:23], v[22:23], v[20:21]
	s_delay_alu instid0(VALU_DEP_2) | instskip(NEXT) | instid1(VALU_DEP_2)
	v_cndmask_b32_e64 v11, v11, v74, s19
	v_rcp_f64_e32 v[26:27], v[24:25]
	v_nop
	s_delay_alu instid0(TRANS32_DEP_1) | instskip(NEXT) | instid1(VALU_DEP_1)
	v_fma_f64 v[28:29], -v[24:25], v[26:27], 1.0
	v_fmac_f64_e32 v[26:27], v[26:27], v[28:29]
	s_delay_alu instid0(VALU_DEP_1) | instskip(NEXT) | instid1(VALU_DEP_1)
	v_fma_f64 v[28:29], -v[24:25], v[26:27], 1.0
	v_fmac_f64_e32 v[26:27], v[26:27], v[28:29]
	v_div_scale_f64 v[28:29], vcc_lo, v[20:21], v[22:23], v[20:21]
	s_delay_alu instid0(VALU_DEP_1) | instskip(NEXT) | instid1(VALU_DEP_1)
	v_mul_f64_e32 v[30:31], v[28:29], v[26:27]
	v_fma_f64 v[24:25], -v[24:25], v[30:31], v[28:29]
	v_cndmask_b32_e64 v28, v3, v78, s23
	s_delay_alu instid0(VALU_DEP_1) | instskip(NEXT) | instid1(VALU_DEP_3)
	v_cndmask_b32_e64 v28, v28, v77, s9
	v_div_fmas_f64 v[24:25], v[24:25], v[26:27], v[30:31]
	v_dual_cndmask_b32 v27, v2, v135, s23 :: v_dual_cndmask_b32 v30, v124, v12, s8
	v_dual_cndmask_b32 v12, v111, v109, s24 :: v_dual_cndmask_b32 v31, v13, v47, s9
	v_lshl_add_u32 v26, v33, 2, v134
	s_delay_alu instid0(VALU_DEP_2)
	v_dual_cndmask_b32 v27, v27, v128, s9 :: v_dual_cndmask_b32 v12, v12, v107, s23
	ds_load_b32 v36, v26 offset:40
	s_wait_dscnt 0x0
	v_cmp_eq_u32_e32 vcc_lo, 8, v36
	v_cmp_eq_u32_e64 s2, 7, v36
	v_div_fixup_f64 v[20:21], v[24:25], v[22:23], v[20:21]
	v_dual_cndmask_b32 v22, v121, v119, s24 :: v_dual_cndmask_b32 v23, v120, v118, s24
	v_dual_cndmask_b32 v10, v10, v126, s17 :: v_dual_cndmask_b32 v24, v121, v119, s15
	v_cndmask_b32_e64 v25, v120, v118, s15
	s_delay_alu instid0(VALU_DEP_3) | instskip(NEXT) | instid1(VALU_DEP_3)
	v_dual_cndmask_b32 v22, v22, v142, s23 :: v_dual_cndmask_b32 v23, v23, v140, s23
	v_dual_cndmask_b32 v10, v10, v116, s18 :: v_dual_cndmask_b32 v29, v12, v123, s9
	s_delay_alu instid0(VALU_DEP_3) | instskip(SKIP_1) | instid1(VALU_DEP_3)
	v_dual_cndmask_b32 v24, v24, v142, s16 :: v_dual_cndmask_b32 v25, v25, v140, s16
	v_dual_cndmask_b32 v12, v14, v123, s22 :: v_dual_cndmask_b32 v14, v11, v73, s20
	v_dual_cndmask_b32 v10, v10, v114, s19 :: v_dual_cndmask_b32 v13, v15, v47, s22
	s_delay_alu instid0(VALU_DEP_3) | instskip(SKIP_1) | instid1(VALU_DEP_3)
	v_dual_cndmask_b32 v15, v24, v131, s22 :: v_dual_cndmask_b32 v24, v25, v130, s22
	v_cmp_eq_u32_e64 s3, 6, v36
	v_dual_cndmask_b32 v10, v10, v112, s20 :: v_dual_cndmask_b32 v25, v27, v126, s10
	v_cmp_eq_u32_e64 s4, 5, v36
	v_cmp_eq_u32_e64 s5, 4, v36
	;; [unrolled: 1-line block ×3, first 2 shown]
	s_delay_alu instid0(VALU_DEP_4)
	v_cndmask_b32_e64 v11, v10, v81, s21
	v_cmp_eq_u32_e64 s7, 2, v36
	v_cmp_eq_u32_e64 s8, 1, v36
	v_dual_cndmask_b32 v10, v14, v72, s21 :: v_dual_cndmask_b32 v12, v12, v122, s17
	v_dual_cndmask_b32 v14, v28, v76, s10 :: v_dual_cndmask_b32 v13, v13, v30, s17
	v_cndmask_b32_e64 v15, v15, v133, s17
	v_add_f64_e64 v[2:3], -v[20:21], 1.0
	s_delay_alu instid0(VALU_DEP_3) | instskip(NEXT) | instid1(VALU_DEP_4)
	v_dual_cndmask_b32 v12, v12, v45, s18 :: v_dual_cndmask_b32 v14, v14, v75, s11
	v_cndmask_b32_e64 v13, v13, v139, s18
	s_delay_alu instid0(VALU_DEP_2) | instskip(NEXT) | instid1(VALU_DEP_2)
	v_dual_cndmask_b32 v22, v22, v131, s9 :: v_dual_cndmask_b32 v12, v12, v49, s19
	v_dual_cndmask_b32 v14, v14, v74, s12 :: v_dual_cndmask_b32 v13, v13, v48, s19
	s_delay_alu instid0(VALU_DEP_2) | instskip(SKIP_3) | instid1(VALU_DEP_2)
	v_cndmask_b32_e64 v12, v12, v59, s20
	v_mul_f64_e32 v[42:43], v[16:17], v[2:3]
	v_dual_mul_f64 v[10:11], v[10:11], v[2:3] :: v_dual_cndmask_b32 v16, v24, v132, s17
	v_dual_cndmask_b32 v17, v25, v116, s11 :: v_dual_cndmask_b32 v15, v15, v141, s18
	v_dual_cndmask_b32 v25, v14, v73, s13 :: v_dual_cndmask_b32 v16, v16, v56, s18
	s_delay_alu instid0(VALU_DEP_2) | instskip(NEXT) | instid1(VALU_DEP_1)
	v_dual_cndmask_b32 v17, v17, v114, s12 :: v_dual_cndmask_b32 v15, v15, v32, s19
	v_dual_cndmask_b32 v16, v16, v54, s19 :: v_dual_cndmask_b32 v17, v17, v112, s13
	s_delay_alu instid0(VALU_DEP_2) | instskip(SKIP_1) | instid1(VALU_DEP_3)
	v_dual_cndmask_b32 v24, v13, v46, s20 :: v_dual_cndmask_b32 v15, v15, v63, s20
	v_cndmask_b32_e64 v13, v12, v57, s21
	v_dual_cndmask_b32 v16, v16, v52, s20 :: v_dual_cndmask_b32 v17, v17, v81, s14
	s_delay_alu instid0(VALU_DEP_3) | instskip(NEXT) | instid1(VALU_DEP_2)
	v_dual_cndmask_b32 v12, v24, v44, s21 :: v_dual_cndmask_b32 v15, v15, v61, s21
	v_dual_cndmask_b32 v14, v16, v50, s21 :: v_dual_cndmask_b32 v16, v25, v72, s14
	s_delay_alu instid0(VALU_DEP_2) | instskip(SKIP_1) | instid1(VALU_DEP_2)
	v_dual_mul_f64 v[64:65], v[12:13], v[2:3] :: v_dual_cndmask_b32 v13, v22, v133, s10
	v_cndmask_b32_e64 v12, v31, v30, s10
	v_dual_mul_f64 v[66:67], v[14:15], v[2:3] :: v_dual_cndmask_b32 v13, v13, v141, s11
	s_delay_alu instid0(VALU_DEP_2) | instskip(SKIP_3) | instid1(VALU_DEP_4)
	v_dual_cndmask_b32 v2, v23, v130, s9 :: v_dual_cndmask_b32 v12, v12, v139, s11
	v_cndmask_b32_e64 v3, v29, v122, s10
	v_cmp_eq_u32_e64 s9, 0, v36
	v_fmac_f64_e32 v[42:43], v[18:19], v[20:21]
	v_cndmask_b32_e64 v2, v2, v132, s10
	v_fmac_f64_e32 v[10:11], v[16:17], v[20:21]
	v_dual_cndmask_b32 v3, v3, v45, s11 :: v_dual_cndmask_b32 v12, v12, v48, s12
	s_delay_alu instid0(VALU_DEP_3) | instskip(NEXT) | instid1(VALU_DEP_2)
	v_cndmask_b32_e64 v2, v2, v56, s11
	v_dual_cndmask_b32 v13, v13, v32, s12 :: v_dual_cndmask_b32 v3, v3, v49, s12
	s_delay_alu instid0(VALU_DEP_3) | instskip(NEXT) | instid1(VALU_DEP_2)
	v_cndmask_b32_e64 v12, v12, v46, s13
	v_dual_cndmask_b32 v2, v2, v54, s12 :: v_dual_cndmask_b32 v13, v13, v63, s13
	s_delay_alu instid0(VALU_DEP_1) | instskip(NEXT) | instid1(VALU_DEP_1)
	v_dual_cndmask_b32 v3, v3, v59, s13 :: v_dual_cndmask_b32 v14, v2, v52, s13
	v_dual_cndmask_b32 v2, v12, v44, s14 :: v_dual_cndmask_b32 v3, v3, v57, s14
	s_delay_alu instid0(VALU_DEP_2) | instskip(NEXT) | instid1(VALU_DEP_2)
	v_dual_cndmask_b32 v13, v13, v61, s14 :: v_dual_cndmask_b32 v12, v14, v50, s14
	v_fmac_f64_e32 v[64:65], v[2:3], v[20:21]
	v_lshl_add_u32 v2, v36, 2, v134
	s_delay_alu instid0(VALU_DEP_3)
	v_fmac_f64_e32 v[66:67], v[12:13], v[20:21]
	ds_load_b32 v2, v2 offset:40
	v_dual_cndmask_b32 v31, v138, v43, vcc_lo :: v_dual_cndmask_b32 v51, v51, v43, s2
	v_cndmask_b32_e64 v26, v73, v10, s2
	v_dual_cndmask_b32 v29, v81, v11, vcc_lo :: v_dual_cndmask_b32 v27, v112, v11, s2
	v_dual_cndmask_b32 v28, v72, v10, vcc_lo :: v_dual_cndmask_b32 v53, v53, v43, s3
	v_cndmask_b32_e64 v24, v74, v10, s3
	v_dual_cndmask_b32 v25, v114, v11, s3 :: v_dual_cndmask_b32 v23, v116, v11, s4
	v_dual_cndmask_b32 v55, v55, v43, s4 :: v_dual_cndmask_b32 v129, v129, v43, s5
	;; [unrolled: 1-line block ×10, first 2 shown]
	s_wait_dscnt 0x0
	scratch_store_b32 off, v2, off offset:4
	v_dual_cndmask_b32 v128, v62, v42, s5 :: v_dual_cndmask_b32 v126, v68, v42, s6
	v_dual_cndmask_b32 v112, v69, v42, s7 :: v_dual_cndmask_b32 v114, v70, v42, s8
	;; [unrolled: 1-line block ×9, first 2 shown]
	s_wait_xcnt 0x0
	v_dual_cndmask_b32 v3, v142, v67, s7 :: v_dual_cndmask_b32 v2, v140, v66, s7
	v_dual_cndmask_b32 v119, v119, v67, s8 :: v_dual_cndmask_b32 v118, v118, v66, s8
	;; [unrolled: 1-line block ×3, first 2 shown]
	v_dual_cndmask_b32 v30, v34, v42, vcc_lo :: v_dual_cndmask_b32 v62, v41, v42, s2
	v_dual_cndmask_b32 v60, v60, v42, s3 :: v_dual_cndmask_b32 v58, v58, v42, s4
	v_dual_cndmask_b32 v57, v57, v65 :: v_dual_cndmask_b32 v44, v44, v64
	v_dual_cndmask_b32 v59, v59, v65, s2 :: v_dual_cndmask_b32 v46, v46, v64, s2
	v_dual_cndmask_b32 v49, v49, v65, s3 :: v_dual_cndmask_b32 v48, v48, v64, s3
	;; [unrolled: 1-line block ×3, first 2 shown]
	v_dual_cndmask_b32 v61, v61, v67 :: v_dual_cndmask_b32 v50, v50, v66
	v_dual_cndmask_b32 v63, v63, v67, s2 :: v_dual_cndmask_b32 v52, v52, v66, s2
	v_dual_cndmask_b32 v47, v32, v67, s3 :: v_dual_cndmask_b32 v54, v54, v66, s3
	;; [unrolled: 1-line block ×3, first 2 shown]
.LBB2_26:
	s_or_b32 exec_lo, exec_lo, s30
	scratch_store_b32 off, v35, off
	s_wait_xcnt 0x0
	s_and_saveexec_b32 s3, s0
	s_cbranch_execz .LBB2_35
; %bb.27:
	s_mov_b32 s4, 0
	s_branch .LBB2_29
.LBB2_28:                               ;   in Loop: Header=BB2_29 Depth=1
	s_wait_xcnt 0x0
	s_or_b32 exec_lo, exec_lo, s5
	s_wait_dscnt 0x0
	v_cmp_gt_i32_e32 vcc_lo, 0, v32
	v_mov_b32_e32 v38, v32
	s_or_b32 s4, vcc_lo, s4
	s_delay_alu instid0(SALU_CYCLE_1)
	s_and_not1_b32 exec_lo, exec_lo, s4
	s_cbranch_execz .LBB2_35
.LBB2_29:                               ; =>This Inner Loop Header: Depth=1
	s_delay_alu instid0(VALU_DEP_1) | instskip(SKIP_3) | instid1(VALU_DEP_2)
	v_cmp_eq_u32_e32 vcc_lo, 1, v38
	v_cmp_eq_u32_e64 s2, 2, v38
	v_dual_cndmask_b32 v32, v117, v115, vcc_lo :: v_dual_cndmask_b32 v34, v116, v114, vcc_lo
	v_cmp_eq_u32_e32 vcc_lo, 3, v38
	v_dual_cndmask_b32 v32, v32, v113, s2 :: v_dual_cndmask_b32 v34, v34, v112, s2
	s_mov_b32 s2, 0
	s_delay_alu instid0(VALU_DEP_1) | instskip(SKIP_1) | instid1(VALU_DEP_2)
	v_dual_cndmask_b32 v32, v32, v127, vcc_lo :: v_dual_cndmask_b32 v34, v34, v126, vcc_lo
	v_cmp_eq_u32_e32 vcc_lo, 4, v38
	v_dual_cndmask_b32 v32, v32, v129, vcc_lo :: v_dual_cndmask_b32 v34, v34, v128, vcc_lo
	v_cmp_eq_u32_e32 vcc_lo, 5, v38
	s_delay_alu instid0(VALU_DEP_2) | instskip(SKIP_1) | instid1(VALU_DEP_2)
	v_dual_cndmask_b32 v32, v32, v55, vcc_lo :: v_dual_cndmask_b32 v34, v34, v58, vcc_lo
	v_cmp_eq_u32_e32 vcc_lo, 6, v38
	v_dual_cndmask_b32 v32, v32, v53, vcc_lo :: v_dual_cndmask_b32 v34, v34, v60, vcc_lo
	v_cmp_eq_u32_e32 vcc_lo, 7, v38
	s_delay_alu instid0(VALU_DEP_2) | instskip(SKIP_1) | instid1(VALU_DEP_2)
	v_dual_cndmask_b32 v32, v32, v51, vcc_lo :: v_dual_cndmask_b32 v34, v34, v62, vcc_lo
	v_cmp_eq_u32_e32 vcc_lo, 8, v38
	v_dual_cndmask_b32 v35, v32, v31 :: v_dual_cndmask_b32 v34, v34, v30
	s_delay_alu instid0(VALU_DEP_1) | instskip(SKIP_3) | instid1(SALU_CYCLE_1)
	v_cmp_ngt_f64_e32 vcc_lo, 0, v[34:35]
	v_lshl_add_u32 v34, v38, 2, v134
	ds_load_b32 v32, v34 offset:40
	s_and_saveexec_b32 s5, vcc_lo
	s_xor_b32 s5, exec_lo, s5
	s_cbranch_execnz .LBB2_32
; %bb.30:                               ;   in Loop: Header=BB2_29 Depth=1
	s_or_saveexec_b32 s5, s5
	v_mov_b32_e32 v35, 0
	s_xor_b32 exec_lo, exec_lo, s5
	s_cbranch_execnz .LBB2_33
.LBB2_31:                               ;   in Loop: Header=BB2_29 Depth=1
	s_or_b32 exec_lo, exec_lo, s5
	s_and_saveexec_b32 s5, s2
	s_cbranch_execz .LBB2_28
	s_branch .LBB2_34
.LBB2_32:                               ;   in Loop: Header=BB2_29 Depth=1
	scratch_load_b32 v34, off, off
	s_wait_loadcnt 0x0
	v_cmp_eq_u32_e32 vcc_lo, -1, v34
                                        ; implicit-def: $vgpr34
	s_and_b32 s2, vcc_lo, exec_lo
	s_wait_xcnt 0x0
	s_or_saveexec_b32 s5, s5
	v_mov_b32_e32 v35, 0
	s_xor_b32 exec_lo, exec_lo, s5
	s_cbranch_execz .LBB2_31
.LBB2_33:                               ;   in Loop: Header=BB2_29 Depth=1
	scratch_load_b32 v37, off, off offset:4
	v_mov_b32_e32 v35, 4
	s_or_b32 s2, s2, exec_lo
	s_wait_loadcnt 0x0
	ds_store_b32 v34, v37 offset:40
	s_wait_xcnt 0x0
	s_or_b32 exec_lo, exec_lo, s5
	s_and_saveexec_b32 s5, s2
	s_cbranch_execz .LBB2_28
.LBB2_34:                               ;   in Loop: Header=BB2_29 Depth=1
	scratch_store_b32 v35, v38, off
	s_branch .LBB2_28
.LBB2_35:
	s_or_b32 exec_lo, exec_lo, s3
	s_and_saveexec_b32 s2, s1
	s_cbranch_execz .LBB2_37
; %bb.36:
	v_cmp_gt_f64_e32 vcc_lo, 0, v[0:1]
	v_lshl_add_u32 v32, v39, 2, v134
	v_lshl_add_u32 v1, v33, 2, v134
	;; [unrolled: 1-line block ×3, first 2 shown]
	s_and_b32 s0, s0, vcc_lo
	s_delay_alu instid0(SALU_CYCLE_1) | instskip(NEXT) | instid1(SALU_CYCLE_1)
	s_or_b32 s0, s27, s0
	v_cndmask_b32_e64 v34, v40, -1, s0
	ds_store_b32 v32, v33 offset:40
	ds_store_b32 v1, v36 offset:40
	;; [unrolled: 1-line block ×3, first 2 shown]
.LBB2_37:
	s_or_b32 exec_lo, exec_lo, s2
	scratch_load_b32 v38, off, off
	v_mov_b64_e32 v[32:33], -1
	v_mov_b64_e32 v[34:35], -1
	s_mov_b32 s27, 0
	v_mov_b32_e32 v33, -1
	s_wait_loadcnt 0x0
	v_cmp_eq_u32_e32 vcc_lo, 1, v38
	v_cmp_eq_u32_e64 s0, 7, v38
	v_dual_cndmask_b32 v0, v13, v15 :: v_dual_cndmask_b32 v1, v12, v14
	v_cmp_eq_u32_e32 vcc_lo, 2, v38
	s_delay_alu instid0(VALU_DEP_2) | instskip(SKIP_1) | instid1(VALU_DEP_2)
	v_dual_cndmask_b32 v0, v0, v17 :: v_dual_cndmask_b32 v1, v1, v16
	v_cmp_eq_u32_e32 vcc_lo, 3, v38
	v_dual_cndmask_b32 v0, v0, v19 :: v_dual_cndmask_b32 v1, v1, v18
	v_cmp_eq_u32_e32 vcc_lo, 4, v38
	s_delay_alu instid0(VALU_DEP_2) | instskip(SKIP_1) | instid1(VALU_DEP_2)
	v_dual_cndmask_b32 v0, v0, v21 :: v_dual_cndmask_b32 v1, v1, v20
	v_cmp_eq_u32_e32 vcc_lo, 5, v38
	v_dual_cndmask_b32 v0, v0, v23 :: v_dual_cndmask_b32 v1, v1, v22
	v_cmp_eq_u32_e32 vcc_lo, 6, v38
	s_delay_alu instid0(VALU_DEP_2) | instskip(SKIP_2) | instid1(VALU_DEP_3)
	v_dual_cndmask_b32 v0, v0, v25 :: v_dual_cndmask_b32 v1, v1, v24
	v_mov_b32_e32 v39, -1
	v_cmp_eq_u32_e32 vcc_lo, 8, v38
	v_dual_cndmask_b32 v0, v0, v27, s0 :: v_dual_cndmask_b32 v36, v1, v26, s0
	v_cmp_lt_i32_e64 s0, -1, v38
	s_delay_alu instid0(VALU_DEP_2) | instskip(NEXT) | instid1(VALU_DEP_3)
	v_cndmask_b32_e32 v1, v0, v29, vcc_lo
	v_cndmask_b32_e32 v0, v36, v28, vcc_lo
	s_wait_xcnt 0x0
	s_and_saveexec_b32 s5, s0
	s_cbranch_execz .LBB2_41
; %bb.38:
	s_delay_alu instid0(VALU_DEP_1)
	v_mov_b64_e32 v[36:37], v[0:1]
	v_dual_mov_b32 v39, -1 :: v_dual_mov_b32 v35, v38
	v_dual_mov_b32 v32, -1 :: v_dual_mov_b32 v34, -1
	v_mov_b32_e32 v33, -1
	s_mov_b32 s6, 0
                                        ; implicit-def: $sgpr7
.LBB2_39:                               ; =>This Inner Loop Header: Depth=1
	s_delay_alu instid0(VALU_DEP_3)
	v_lshl_add_u32 v40, v35, 2, v134
	v_cmp_gt_f64_e64 s3, 0, v[36:37]
	ds_load_b32 v42, v40 offset:40
	s_wait_dscnt 0x0
	v_cmp_gt_i32_e32 vcc_lo, 0, v42
	v_cndmask_b32_e32 v43, v42, v38, vcc_lo
	s_delay_alu instid0(VALU_DEP_1) | instskip(NEXT) | instid1(VALU_DEP_1)
	v_cmp_eq_u32_e64 s1, 1, v43
	v_dual_cndmask_b32 v40, v13, v15, s1 :: v_dual_cndmask_b32 v41, v12, v14, s1
	v_cmp_eq_u32_e64 s1, 2, v43
	s_delay_alu instid0(VALU_DEP_1) | instskip(SKIP_1) | instid1(VALU_DEP_1)
	v_dual_cndmask_b32 v40, v40, v17, s1 :: v_dual_cndmask_b32 v41, v41, v16, s1
	v_cmp_eq_u32_e64 s1, 3, v43
	v_dual_cndmask_b32 v40, v40, v19, s1 :: v_dual_cndmask_b32 v41, v41, v18, s1
	v_cmp_eq_u32_e64 s1, 4, v43
	s_delay_alu instid0(VALU_DEP_1) | instskip(SKIP_1) | instid1(VALU_DEP_1)
	v_dual_cndmask_b32 v40, v40, v21, s1 :: v_dual_cndmask_b32 v41, v41, v20, s1
	;; [unrolled: 5-line block ×3, first 2 shown]
	v_cmp_eq_u32_e64 s1, 7, v43
	v_dual_cndmask_b32 v40, v40, v27, s1 :: v_dual_cndmask_b32 v64, v41, v26, s1
	v_cmp_eq_u32_e64 s1, 8, v43
	s_delay_alu instid0(VALU_DEP_1) | instskip(NEXT) | instid1(VALU_DEP_3)
	v_cndmask_b32_e64 v41, v40, v29, s1
	v_cndmask_b32_e64 v40, v64, v28, s1
	v_cmp_le_f64_e64 s1, 0, v[36:37]
	s_delay_alu instid0(VALU_DEP_2) | instskip(SKIP_1) | instid1(SALU_CYCLE_1)
	v_cmp_gt_f64_e64 s2, 0, v[40:41]
	s_and_b32 s1, s1, s2
	v_cndmask_b32_e64 v39, v39, v35, s1
	v_cmp_le_f64_e64 s4, 0, v[40:41]
	v_cndmask_b32_e64 v34, v34, v43, s1
	s_and_b32 s2, s3, s4
	s_or_b32 s6, vcc_lo, s6
	v_cndmask_b32_e64 v33, v33, v43, s2
	v_mov_b64_e32 v[36:37], v[40:41]
	v_dual_cndmask_b32 v32, v32, v35, s2 :: v_dual_mov_b32 v35, v42
	s_and_not1_b32 s1, s7, exec_lo
	s_and_b32 s2, s3, exec_lo
	s_delay_alu instid0(SALU_CYCLE_1)
	s_or_b32 s7, s1, s2
	s_and_not1_b32 exec_lo, exec_lo, s6
	s_cbranch_execnz .LBB2_39
; %bb.40:
	s_or_b32 exec_lo, exec_lo, s6
	s_delay_alu instid0(SALU_CYCLE_1)
	s_and_b32 s27, s7, exec_lo
.LBB2_41:
	s_or_b32 exec_lo, exec_lo, s5
	v_dual_mov_b32 v35, -1 :: v_dual_mov_b32 v36, -1
	v_cmp_lt_i32_e64 s1, -1, v39
	v_mov_b32_e32 v37, -1
	s_and_saveexec_b32 s30, s1
	s_cbranch_execz .LBB2_43
; %bb.42:
	v_cmp_eq_u32_e64 s8, 1, v34
	v_cmp_eq_u32_e64 s9, 2, v34
	;; [unrolled: 1-line block ×5, first 2 shown]
	v_cndmask_b32_e64 v36, v13, v15, s8
	v_cmp_eq_u32_e64 s13, 6, v34
	v_cmp_eq_u32_e64 s14, 7, v34
	;; [unrolled: 1-line block ×3, first 2 shown]
	v_cndmask_b32_e64 v34, v12, v14, s8
	v_cndmask_b32_e64 v36, v36, v17, s9
	v_cmp_eq_u32_e64 s16, 1, v39
	v_cmp_eq_u32_e64 s17, 2, v39
	;; [unrolled: 1-line block ×3, first 2 shown]
	s_delay_alu instid0(VALU_DEP_4) | instskip(SKIP_3) | instid1(VALU_DEP_4)
	v_dual_cndmask_b32 v34, v34, v16, s9 :: v_dual_cndmask_b32 v36, v36, v19, s10
	v_cmp_eq_u32_e64 s19, 4, v39
	v_cmp_eq_u32_e64 s20, 5, v39
	;; [unrolled: 1-line block ×3, first 2 shown]
	v_dual_cndmask_b32 v34, v34, v18, s10 :: v_dual_cndmask_b32 v36, v36, v21, s11
	v_cmp_eq_u32_e64 s22, 7, v39
	v_cmp_eq_u32_e64 s23, 8, v39
	s_delay_alu instid0(VALU_DEP_3) | instskip(NEXT) | instid1(VALU_DEP_1)
	v_dual_cndmask_b32 v34, v34, v20, s11 :: v_dual_cndmask_b32 v36, v36, v23, s12
	v_dual_cndmask_b32 v34, v34, v22, s12 :: v_dual_cndmask_b32 v36, v36, v25, s13
	s_delay_alu instid0(VALU_DEP_1) | instskip(NEXT) | instid1(VALU_DEP_1)
	v_dual_cndmask_b32 v34, v34, v24, s13 :: v_dual_cndmask_b32 v36, v36, v27, s14
	v_dual_cndmask_b32 v34, v34, v26, s14 :: v_dual_cndmask_b32 v41, v36, v29, s15
	s_delay_alu instid0(VALU_DEP_1) | instskip(NEXT) | instid1(VALU_DEP_1)
	v_dual_cndmask_b32 v36, v12, v14, s16 :: v_dual_cndmask_b32 v40, v34, v28, s15
	v_dual_cndmask_b32 v34, v13, v15, s16 :: v_dual_cndmask_b32 v36, v36, v16, s17
	s_delay_alu instid0(VALU_DEP_1) | instskip(NEXT) | instid1(VALU_DEP_1)
	v_dual_cndmask_b32 v34, v34, v17, s17 :: v_dual_cndmask_b32 v36, v36, v18, s18
	v_dual_cndmask_b32 v34, v34, v19, s18 :: v_dual_cndmask_b32 v36, v36, v20, s19
	s_delay_alu instid0(VALU_DEP_1) | instskip(NEXT) | instid1(VALU_DEP_1)
	v_dual_cndmask_b32 v34, v34, v21, s19 :: v_dual_cndmask_b32 v36, v36, v22, s20
	v_dual_cndmask_b32 v34, v34, v23, s20 :: v_dual_cndmask_b32 v36, v36, v24, s21
	s_delay_alu instid0(VALU_DEP_1) | instskip(NEXT) | instid1(VALU_DEP_1)
	v_dual_cndmask_b32 v34, v34, v25, s21 :: v_dual_cndmask_b32 v36, v36, v26, s22
	v_dual_cndmask_b32 v34, v34, v27, s22 :: v_dual_cndmask_b32 v42, v36, v28, s23
	v_add_f64_e64 v[36:37], -v[40:41], 0
	s_delay_alu instid0(VALU_DEP_2) | instskip(NEXT) | instid1(VALU_DEP_1)
	v_dual_cndmask_b32 v43, v34, v29, s23 :: v_dual_cndmask_b32 v34, v117, v115, s16
	v_add_f64_e64 v[64:65], v[42:43], -v[40:41]
	s_delay_alu instid0(VALU_DEP_1) | instskip(NEXT) | instid1(VALU_DEP_1)
	v_div_scale_f64 v[66:67], null, v[64:65], v[64:65], v[36:37]
	v_rcp_f64_e32 v[68:69], v[66:67]
	v_nop
	s_delay_alu instid0(TRANS32_DEP_1) | instskip(NEXT) | instid1(VALU_DEP_1)
	v_fma_f64 v[70:71], -v[66:67], v[68:69], 1.0
	v_fmac_f64_e32 v[68:69], v[68:69], v[70:71]
	s_delay_alu instid0(VALU_DEP_1) | instskip(NEXT) | instid1(VALU_DEP_1)
	v_fma_f64 v[70:71], -v[66:67], v[68:69], 1.0
	v_fmac_f64_e32 v[68:69], v[68:69], v[70:71]
	v_div_scale_f64 v[70:71], vcc_lo, v[36:37], v[64:65], v[36:37]
	s_delay_alu instid0(VALU_DEP_1) | instskip(NEXT) | instid1(VALU_DEP_1)
	v_mul_f64_e32 v[72:73], v[70:71], v[68:69]
	v_fma_f64 v[66:67], -v[66:67], v[72:73], v[70:71]
	s_delay_alu instid0(VALU_DEP_1) | instskip(NEXT) | instid1(VALU_DEP_1)
	v_div_fmas_f64 v[66:67], v[66:67], v[68:69], v[72:73]
	v_div_fixup_f64 v[64:65], v[66:67], v[64:65], v[36:37]
	v_dual_cndmask_b32 v36, v116, v114, s16 :: v_dual_cndmask_b32 v34, v34, v113, s17
	v_cndmask_b32_e64 v66, v116, v114, s8
	s_delay_alu instid0(VALU_DEP_2) | instskip(NEXT) | instid1(VALU_DEP_1)
	v_cndmask_b32_e64 v36, v36, v112, s17
	v_dual_cndmask_b32 v36, v36, v126, s18 :: v_dual_cndmask_b32 v34, v34, v127, s18
	s_delay_alu instid0(VALU_DEP_1) | instskip(NEXT) | instid1(VALU_DEP_1)
	v_dual_cndmask_b32 v36, v36, v128, s19 :: v_dual_cndmask_b32 v34, v34, v129, s19
	v_dual_cndmask_b32 v36, v36, v58, s20 :: v_dual_cndmask_b32 v34, v34, v55, s20
	s_delay_alu instid0(VALU_DEP_1) | instskip(NEXT) | instid1(VALU_DEP_1)
	v_dual_cndmask_b32 v36, v36, v60, s21 :: v_dual_cndmask_b32 v34, v34, v53, s21
	v_cndmask_b32_e64 v36, v36, v62, s22
	v_add_f64_e64 v[68:69], -v[64:65], 1.0
	s_delay_alu instid0(VALU_DEP_2) | instskip(NEXT) | instid1(VALU_DEP_1)
	v_dual_cndmask_b32 v34, v34, v51, s22 :: v_dual_cndmask_b32 v36, v36, v30, s23
	v_cndmask_b32_e64 v37, v34, v31, s23
	v_cndmask_b32_e64 v34, v117, v115, s8
	s_delay_alu instid0(VALU_DEP_1) | instskip(NEXT) | instid1(VALU_DEP_1)
	v_cndmask_b32_e64 v34, v34, v113, s9
	v_cndmask_b32_e64 v34, v34, v127, s10
	s_delay_alu instid0(VALU_DEP_1) | instskip(NEXT) | instid1(VALU_DEP_1)
	v_cndmask_b32_e64 v34, v34, v129, s11
	v_dual_mul_f64 v[40:41], v[40:41], v[68:69] :: v_dual_cndmask_b32 v34, v34, v55, s12
	s_delay_alu instid0(VALU_DEP_1) | instskip(NEXT) | instid1(VALU_DEP_1)
	v_cndmask_b32_e64 v34, v34, v53, s13
	v_cndmask_b32_e64 v34, v34, v51, s14
	s_delay_alu instid0(VALU_DEP_3) | instskip(SKIP_1) | instid1(VALU_DEP_3)
	v_fmac_f64_e32 v[40:41], v[42:43], v[64:65]
	v_cndmask_b32_e64 v66, v66, v112, s9
	v_cndmask_b32_e64 v67, v34, v31, s15
	s_delay_alu instid0(VALU_DEP_2) | instskip(NEXT) | instid1(VALU_DEP_1)
	v_cndmask_b32_e64 v66, v66, v126, s10
	v_cndmask_b32_e64 v66, v66, v128, s11
	s_delay_alu instid0(VALU_DEP_1) | instskip(NEXT) | instid1(VALU_DEP_1)
	v_cndmask_b32_e64 v66, v66, v58, s12
	v_cndmask_b32_e64 v66, v66, v60, s13
	s_delay_alu instid0(VALU_DEP_1) | instskip(NEXT) | instid1(VALU_DEP_1)
	v_cndmask_b32_e64 v66, v66, v62, s14
	v_cndmask_b32_e64 v66, v66, v30, s15
	s_delay_alu instid0(VALU_DEP_1) | instskip(NEXT) | instid1(VALU_DEP_1)
	v_mul_f64_e32 v[66:67], v[66:67], v[68:69]
	v_fmac_f64_e32 v[66:67], v[36:37], v[64:65]
	scratch_load_b32 v36, off, off offset:4
	s_wait_loadcnt 0x0
	v_cmp_eq_u32_e64 s25, 7, v36
	v_cmp_eq_u32_e64 s2, 5, v36
	;; [unrolled: 1-line block ×5, first 2 shown]
	s_delay_alu instid0(VALU_DEP_4) | instskip(NEXT) | instid1(VALU_DEP_4)
	v_dual_cndmask_b32 v75, v26, v40, s25 :: v_dual_cndmask_b32 v55, v55, v67, s2
	v_cndmask_b32_e64 v72, v112, v66, s4
	s_delay_alu instid0(VALU_DEP_4) | instskip(SKIP_4) | instid1(VALU_DEP_4)
	v_dual_cndmask_b32 v112, v12, v40, s6 :: v_dual_cndmask_b32 v139, v13, v41, s6
	v_dual_cndmask_b32 v13, v110, v108, s8 :: v_dual_cndmask_b32 v12, v111, v109, s8
	v_cmp_eq_u32_e32 vcc_lo, 6, v36
	v_cndmask_b32_e64 v81, v14, v40, s5
	v_dual_cndmask_b32 v73, v114, v66, s5 :: v_dual_cndmask_b32 v138, v15, v41, s5
	v_dual_cndmask_b32 v13, v13, v106, s9 :: v_dual_cndmask_b32 v12, v12, v107, s9
	v_cndmask_b32_e64 v80, v16, v40, s4
	v_cmp_eq_u32_e64 s24, 8, v36
	v_cmp_eq_u32_e64 s3, 3, v36
	s_delay_alu instid0(VALU_DEP_4) | instskip(SKIP_1) | instid1(VALU_DEP_3)
	v_dual_cndmask_b32 v13, v13, v122, s10 :: v_dual_cndmask_b32 v12, v12, v123, s10
	v_dual_cndmask_b32 v53, v53, v67, vcc_lo :: v_dual_cndmask_b32 v51, v51, v67, s25
	v_cndmask_b32_e64 v79, v18, v40, s3
	s_delay_alu instid0(VALU_DEP_3) | instskip(SKIP_2) | instid1(VALU_DEP_3)
	v_dual_cndmask_b32 v13, v13, v124, s11 :: v_dual_cndmask_b32 v12, v12, v125, s11
	v_dual_cndmask_b32 v71, v126, v66, s3 :: v_dual_cndmask_b32 v137, v17, v41, s4
	v_cmp_eq_u32_e64 s7, 4, v36
	v_dual_cndmask_b32 v13, v13, v10, s12 :: v_dual_cndmask_b32 v12, v12, v45, s12
	v_cndmask_b32_e64 v15, v110, v108, s16
	v_dual_cndmask_b32 v58, v58, v66, s2 :: v_dual_cndmask_b32 v136, v19, v41, s3
	s_delay_alu instid0(VALU_DEP_3) | instskip(NEXT) | instid1(VALU_DEP_3)
	v_dual_cndmask_b32 v13, v13, v48, s13 :: v_dual_cndmask_b32 v12, v12, v49, s13
	v_dual_cndmask_b32 v15, v15, v106, s17 :: v_dual_cndmask_b32 v78, v20, v40, s7
	;; [unrolled: 1-line block ×3, first 2 shown]
	s_delay_alu instid0(VALU_DEP_3) | instskip(NEXT) | instid1(VALU_DEP_3)
	v_dual_cndmask_b32 v12, v12, v59, s14 :: v_dual_cndmask_b32 v14, v13, v46, s14
	v_dual_cndmask_b32 v15, v15, v122, s18 :: v_dual_cndmask_b32 v77, v22, v40, s2
	s_delay_alu instid0(VALU_DEP_2) | instskip(NEXT) | instid1(VALU_DEP_3)
	v_dual_cndmask_b32 v140, v31, v67, s24 :: v_dual_cndmask_b32 v13, v12, v57, s15
	v_dual_cndmask_b32 v12, v14, v44, s15 :: v_dual_cndmask_b32 v14, v111, v109, s16
	s_delay_alu instid0(VALU_DEP_3) | instskip(SKIP_1) | instid1(VALU_DEP_3)
	v_dual_cndmask_b32 v15, v15, v124, s19 :: v_dual_cndmask_b32 v34, v30, v66, s24
	v_cndmask_b32_e64 v70, v128, v66, s7
	v_dual_mul_f64 v[12:13], v[12:13], v[68:69] :: v_dual_cndmask_b32 v14, v14, v107, s17
	s_delay_alu instid0(VALU_DEP_3) | instskip(SKIP_1) | instid1(VALU_DEP_2)
	v_dual_cndmask_b32 v15, v15, v10, s20 :: v_dual_cndmask_b32 v76, v24, v40, vcc_lo
	v_dual_cndmask_b32 v128, v23, v41, s2 :: v_dual_cndmask_b32 v126, v25, v41, vcc_lo
	v_dual_cndmask_b32 v14, v14, v123, s18 :: v_dual_cndmask_b32 v15, v15, v48, s21
	v_cndmask_b32_e32 v60, v60, v66, vcc_lo
	v_cndmask_b32_e64 v66, v116, v66, s6
	s_delay_alu instid0(VALU_DEP_3) | instskip(NEXT) | instid1(VALU_DEP_4)
	v_dual_cndmask_b32 v74, v28, v40, s24 :: v_dual_cndmask_b32 v14, v14, v125, s19
	v_cndmask_b32_e64 v16, v15, v46, s22
	v_dual_cndmask_b32 v116, v27, v41, s25 :: v_dual_cndmask_b32 v114, v29, v41, s24
	s_delay_alu instid0(VALU_DEP_3) | instskip(NEXT) | instid1(VALU_DEP_1)
	v_cndmask_b32_e64 v14, v14, v45, s20
	v_cndmask_b32_e64 v14, v14, v49, s21
	s_delay_alu instid0(VALU_DEP_1) | instskip(NEXT) | instid1(VALU_DEP_1)
	v_cndmask_b32_e64 v14, v14, v59, s22
	v_dual_cndmask_b32 v15, v14, v57, s23 :: v_dual_cndmask_b32 v14, v16, v44, s23
	v_cndmask_b32_e64 v16, v120, v118, s16
	s_delay_alu instid0(VALU_DEP_2) | instskip(SKIP_1) | instid1(VALU_DEP_1)
	v_fmac_f64_e32 v[12:13], v[14:15], v[64:65]
	v_cndmask_b32_e64 v14, v120, v118, s8
	v_dual_cndmask_b32 v16, v16, v2, s17 :: v_dual_cndmask_b32 v14, v14, v2, s9
	s_delay_alu instid0(VALU_DEP_1) | instskip(NEXT) | instid1(VALU_DEP_1)
	v_dual_cndmask_b32 v16, v16, v130, s18 :: v_dual_cndmask_b32 v14, v14, v130, s10
	v_dual_cndmask_b32 v16, v16, v132, s19 :: v_dual_cndmask_b32 v14, v14, v132, s11
	s_delay_alu instid0(VALU_DEP_1) | instskip(NEXT) | instid1(VALU_DEP_1)
	v_cndmask_b32_e64 v16, v16, v56, s20
	v_cndmask_b32_e64 v16, v16, v54, s21
	s_delay_alu instid0(VALU_DEP_1)
	v_dual_cndmask_b32 v16, v16, v52, s22 :: v_dual_cndmask_b32 v49, v49, v13, vcc_lo
	v_dual_cndmask_b32 v48, v48, v12, vcc_lo :: v_dual_cndmask_b32 v141, v10, v12, s2
	v_cndmask_b32_e64 v45, v45, v13, s2
	v_cndmask_b32_e64 v10, v121, v119, s8
	v_cmp_eq_u32_e64 s8, 3, v33
	v_dual_cndmask_b32 v110, v110, v12, s6 :: v_dual_cndmask_b32 v123, v123, v13, s3
	v_dual_cndmask_b32 v107, v107, v13, s4 :: v_dual_cndmask_b32 v109, v109, v13, s5
	s_delay_alu instid0(VALU_DEP_4) | instskip(SKIP_3) | instid1(VALU_DEP_4)
	v_cndmask_b32_e64 v10, v10, v3, s9
	v_cmp_eq_u32_e64 s9, 4, v33
	v_dual_cndmask_b32 v44, v44, v12, s24 :: v_dual_cndmask_b32 v46, v46, v12, s25
	v_dual_cndmask_b32 v57, v57, v13, s24 :: v_dual_cndmask_b32 v59, v59, v13, s25
	v_cndmask_b32_e64 v10, v10, v131, s10
	v_cmp_eq_u32_e64 s10, 5, v33
	v_dual_cndmask_b32 v106, v106, v12, s4 :: v_dual_cndmask_b32 v16, v16, v50, s23
	s_delay_alu instid0(VALU_DEP_3) | instskip(SKIP_1) | instid1(VALU_DEP_2)
	v_dual_cndmask_b32 v108, v108, v12, s5 :: v_dual_cndmask_b32 v10, v10, v133, s11
	v_cmp_eq_u32_e64 s11, 6, v33
	v_cndmask_b32_e64 v10, v10, v11, s12
	s_delay_alu instid0(VALU_DEP_1) | instskip(NEXT) | instid1(VALU_DEP_1)
	v_cndmask_b32_e64 v10, v10, v47, s13
	v_cndmask_b32_e64 v10, v10, v63, s14
	s_delay_alu instid0(VALU_DEP_1) | instskip(SKIP_3) | instid1(VALU_DEP_4)
	v_dual_cndmask_b32 v15, v10, v61, s15 :: v_dual_cndmask_b32 v10, v121, v119, s16
	v_cndmask_b32_e64 v14, v14, v56, s12
	v_cmp_eq_u32_e64 s16, 4, v32
	v_cmp_eq_u32_e64 s12, 7, v33
	v_cndmask_b32_e64 v10, v10, v3, s17
	s_delay_alu instid0(VALU_DEP_4) | instskip(SKIP_2) | instid1(VALU_DEP_4)
	v_cndmask_b32_e64 v14, v14, v54, s13
	v_cmp_eq_u32_e64 s17, 5, v32
	v_cmp_eq_u32_e64 s13, 8, v33
	v_cndmask_b32_e64 v10, v10, v131, s18
	s_delay_alu instid0(VALU_DEP_4) | instskip(SKIP_2) | instid1(VALU_DEP_4)
	;; [unrolled: 5-line block ×3, first 2 shown]
	v_cndmask_b32_e64 v14, v14, v50, s15
	v_cmp_eq_u32_e64 s15, 2, v32
	v_cmp_eq_u32_e64 s19, 7, v32
	v_cndmask_b32_e64 v10, v10, v11, s20
	v_cmp_eq_u32_e64 s20, 8, v32
	s_delay_alu instid0(VALU_DEP_2) | instskip(SKIP_3) | instid1(VALU_DEP_4)
	v_cndmask_b32_e64 v10, v10, v47, s21
	v_cmp_eq_u32_e64 s21, 3, v32
	v_mul_f64_e32 v[14:15], v[14:15], v[68:69]
	v_dual_cndmask_b32 v69, v122, v12, s3 :: v_dual_cndmask_b32 v122, v125, v13, s7
	v_cndmask_b32_e64 v10, v10, v63, s22
	v_cmp_eq_u32_e64 s22, 2, v33
	s_delay_alu instid0(VALU_DEP_2) | instskip(SKIP_1) | instid1(VALU_DEP_1)
	v_dual_cndmask_b32 v68, v124, v12, s7 :: v_dual_cndmask_b32 v17, v10, v61, s23
	v_cmp_eq_u32_e64 s23, 1, v33
	v_dual_cndmask_b32 v18, v112, v81, s23 :: v_dual_cndmask_b32 v10, v139, v138, s14
	s_delay_alu instid0(VALU_DEP_1) | instskip(NEXT) | instid1(VALU_DEP_4)
	v_cndmask_b32_e64 v18, v18, v80, s22
	v_fmac_f64_e32 v[14:15], v[16:17], v[64:65]
	v_dual_cndmask_b32 v16, v112, v81, s14 :: v_dual_cndmask_b32 v17, v139, v138, s23
	v_dual_cndmask_b32 v64, v113, v67, s4 :: v_dual_cndmask_b32 v65, v115, v67, s5
	s_delay_alu instid0(VALU_DEP_2) | instskip(NEXT) | instid1(VALU_DEP_3)
	v_dual_cndmask_b32 v111, v111, v13, s6 :: v_dual_cndmask_b32 v16, v16, v80, s15
	v_dual_cndmask_b32 v17, v17, v137, s22 :: v_dual_cndmask_b32 v10, v10, v137, s15
	s_delay_alu instid0(VALU_DEP_2) | instskip(NEXT) | instid1(VALU_DEP_2)
	v_dual_cndmask_b32 v13, v110, v108, s23 :: v_dual_cndmask_b32 v16, v16, v79, s21
	v_dual_cndmask_b32 v17, v17, v136, s8 :: v_dual_cndmask_b32 v10, v10, v136, s21
	s_delay_alu instid0(VALU_DEP_2) | instskip(NEXT) | instid1(VALU_DEP_3)
	v_cndmask_b32_e64 v13, v13, v106, s22
	v_dual_cndmask_b32 v16, v16, v78, s16 :: v_dual_cndmask_b32 v18, v18, v79, s8
	s_delay_alu instid0(VALU_DEP_3) | instskip(NEXT) | instid1(VALU_DEP_2)
	v_dual_cndmask_b32 v10, v10, v135, s16 :: v_dual_cndmask_b32 v17, v17, v135, s9
	v_dual_cndmask_b32 v16, v16, v77, s17 :: v_dual_cndmask_b32 v18, v18, v78, s9
	s_delay_alu instid0(VALU_DEP_2) | instskip(NEXT) | instid1(VALU_DEP_2)
	v_dual_cndmask_b32 v17, v17, v128, s10 :: v_dual_cndmask_b32 v10, v10, v128, s17
	v_dual_cndmask_b32 v16, v16, v76, s18 :: v_dual_cndmask_b32 v18, v18, v77, s10
	s_delay_alu instid0(VALU_DEP_2) | instskip(NEXT) | instid1(VALU_DEP_2)
	v_dual_cndmask_b32 v17, v17, v126, s11 :: v_dual_cndmask_b32 v10, v10, v126, s18
	v_dual_cndmask_b32 v16, v16, v75, s19 :: v_dual_cndmask_b32 v50, v50, v14, s24
	v_cndmask_b32_e32 v54, v54, v14, vcc_lo
	s_delay_alu instid0(VALU_DEP_4) | instskip(NEXT) | instid1(VALU_DEP_4)
	v_cndmask_b32_e64 v18, v18, v76, s11
	v_dual_cndmask_b32 v10, v10, v116, s19 :: v_dual_cndmask_b32 v19, v17, v116, s12
	s_delay_alu instid0(VALU_DEP_4) | instskip(NEXT) | instid1(VALU_DEP_3)
	v_dual_cndmask_b32 v16, v16, v74, s20 :: v_dual_cndmask_b32 v32, v47, v15, vcc_lo
	v_cndmask_b32_e64 v18, v18, v75, s12
	s_delay_alu instid0(VALU_DEP_3) | instskip(SKIP_1) | instid1(VALU_DEP_3)
	v_dual_cndmask_b32 v17, v10, v114, s20 :: v_dual_cndmask_b32 v19, v19, v114, s13
	v_dual_cndmask_b32 v47, v127, v67, s3 :: v_dual_cndmask_b32 v142, v2, v14, s4
	;; [unrolled: 1-line block ×3, first 2 shown]
	s_delay_alu instid0(VALU_DEP_3) | instskip(SKIP_2) | instid1(VALU_DEP_4)
	v_add_f64_e64 v[20:21], -v[16:17], 0
	v_dual_cndmask_b32 v144, v3, v15, s4 :: v_dual_cndmask_b32 v3, v66, v73, s23
	v_dual_cndmask_b32 v119, v119, v15, s5 :: v_dual_cndmask_b32 v11, v66, v73, s14
	v_dual_add_f64 v[22:23], v[18:19], -v[16:17] :: v_dual_cndmask_b32 v132, v132, v14, s7
	v_dual_cndmask_b32 v12, v111, v109, s23 :: v_dual_cndmask_b32 v130, v130, v14, s3
	s_delay_alu instid0(VALU_DEP_3) | instskip(SKIP_2) | instid1(VALU_DEP_3)
	v_dual_cndmask_b32 v120, v120, v14, s6 :: v_dual_cndmask_b32 v11, v11, v72, s15
	v_dual_cndmask_b32 v118, v118, v14, s5 :: v_dual_cndmask_b32 v133, v133, v15, s7
	;; [unrolled: 1-line block ×5, first 2 shown]
	v_cndmask_b32_e64 v63, v63, v15, s25
	v_dual_cndmask_b32 v14, v111, v109, s14 :: v_dual_cndmask_b32 v15, v110, v108, s14
	s_delay_alu instid0(VALU_DEP_1) | instskip(NEXT) | instid1(VALU_DEP_2)
	v_dual_cndmask_b32 v12, v12, v107, s22 :: v_dual_cndmask_b32 v14, v14, v107, s15
	v_cndmask_b32_e64 v15, v15, v106, s15
	v_div_scale_f64 v[24:25], null, v[22:23], v[22:23], v[20:21]
	v_div_scale_f64 v[30:31], vcc_lo, v[20:21], v[22:23], v[20:21]
	s_delay_alu instid0(VALU_DEP_2) | instskip(SKIP_1) | instid1(TRANS32_DEP_1)
	v_rcp_f64_e32 v[26:27], v[24:25]
	v_nop
	v_fma_f64 v[28:29], -v[24:25], v[26:27], 1.0
	s_delay_alu instid0(VALU_DEP_1) | instskip(NEXT) | instid1(VALU_DEP_1)
	v_fmac_f64_e32 v[26:27], v[26:27], v[28:29]
	v_fma_f64 v[28:29], -v[24:25], v[26:27], 1.0
	s_delay_alu instid0(VALU_DEP_1) | instskip(NEXT) | instid1(VALU_DEP_1)
	v_fmac_f64_e32 v[26:27], v[26:27], v[28:29]
	v_mul_f64_e32 v[28:29], v[30:31], v[26:27]
	s_delay_alu instid0(VALU_DEP_1) | instskip(SKIP_2) | instid1(VALU_DEP_1)
	v_fma_f64 v[24:25], -v[24:25], v[28:29], v[30:31]
	v_cndmask_b32_e64 v30, v129, v67, s7
	v_cndmask_b32_e64 v67, v117, v67, s6
	v_dual_cndmask_b32 v2, v67, v65, s23 :: v_dual_cndmask_b32 v10, v67, v65, s14
	s_delay_alu instid0(VALU_DEP_1) | instskip(NEXT) | instid1(VALU_DEP_1)
	v_cndmask_b32_e64 v10, v10, v64, s15
	v_cndmask_b32_e64 v10, v10, v47, s21
	v_div_fmas_f64 v[24:25], v[24:25], v[26:27], v[28:29]
	s_delay_alu instid0(VALU_DEP_4)
	v_cndmask_b32_e64 v27, v2, v64, s22
	v_cndmask_b32_e64 v28, v3, v72, s22
	v_lshl_add_u32 v26, v36, 2, v134
	ds_load_b32 v37, v26 offset:40
	s_wait_dscnt 0x0
	v_cmp_eq_u32_e32 vcc_lo, 8, v37
	v_cmp_eq_u32_e64 s2, 7, v37
	v_cmp_eq_u32_e64 s3, 6, v37
	;; [unrolled: 1-line block ×3, first 2 shown]
	v_div_fixup_f64 v[20:21], v[24:25], v[22:23], v[20:21]
	v_dual_cndmask_b32 v22, v121, v119, s23 :: v_dual_cndmask_b32 v23, v120, v118, s23
	v_dual_cndmask_b32 v24, v121, v119, s14 :: v_dual_cndmask_b32 v25, v120, v118, s14
	v_cndmask_b32_e64 v10, v10, v30, s16
	s_delay_alu instid0(VALU_DEP_3) | instskip(NEXT) | instid1(VALU_DEP_3)
	v_dual_cndmask_b32 v11, v11, v70, s16 :: v_dual_cndmask_b32 v29, v22, v144, s22
	v_dual_cndmask_b32 v22, v24, v144, s15 :: v_dual_cndmask_b32 v31, v23, v142, s22
	s_delay_alu instid0(VALU_DEP_2) | instskip(SKIP_1) | instid1(VALU_DEP_2)
	v_dual_cndmask_b32 v10, v10, v55, s17 :: v_dual_cndmask_b32 v11, v11, v58, s17
	v_dual_cndmask_b32 v23, v25, v142, s15 :: v_dual_cndmask_b32 v24, v27, v47, s8
	;; [unrolled: 1-line block ×3, first 2 shown]
	s_delay_alu instid0(VALU_DEP_3) | instskip(SKIP_1) | instid1(VALU_DEP_3)
	v_dual_cndmask_b32 v11, v11, v60, s18 :: v_dual_cndmask_b32 v27, v12, v123, s8
	v_dual_cndmask_b32 v28, v13, v69, s8 :: v_dual_cndmask_b32 v12, v14, v123, s21
	;; [unrolled: 1-line block ×3, first 2 shown]
	s_delay_alu instid0(VALU_DEP_3) | instskip(NEXT) | instid1(VALU_DEP_2)
	v_dual_cndmask_b32 v13, v11, v62, s19 :: v_dual_cndmask_b32 v15, v22, v131, s21
	v_dual_cndmask_b32 v22, v23, v130, s21 :: v_dual_cndmask_b32 v11, v10, v140, s20
	s_delay_alu instid0(VALU_DEP_3) | instskip(NEXT) | instid1(VALU_DEP_3)
	v_dual_cndmask_b32 v23, v24, v30, s9 :: v_dual_cndmask_b32 v14, v14, v68, s16
	v_cndmask_b32_e64 v10, v13, v34, s20
	s_delay_alu instid0(VALU_DEP_4)
	v_dual_cndmask_b32 v24, v25, v70, s9 :: v_dual_cndmask_b32 v15, v15, v133, s16
	v_cndmask_b32_e64 v25, v12, v122, s16
	v_add_f64_e64 v[2:3], -v[20:21], 1.0
	v_cmp_eq_u32_e64 s5, 4, v37
	v_cmp_eq_u32_e64 s6, 3, v37
	v_cmp_eq_u32_e64 s7, 2, v37
	v_cndmask_b32_e64 v14, v14, v141, s17
	s_delay_alu instid0(VALU_DEP_1) | instskip(NEXT) | instid1(VALU_DEP_1)
	v_cndmask_b32_e64 v14, v14, v48, s18
	v_cndmask_b32_e64 v14, v14, v46, s19
	s_delay_alu instid0(VALU_DEP_1) | instskip(SKIP_4) | instid1(VALU_DEP_2)
	v_dual_mul_f64 v[12:13], v[16:17], v[2:3] :: v_dual_cndmask_b32 v14, v14, v44, s20
	v_cndmask_b32_e64 v16, v22, v132, s16
	v_mul_f64_e32 v[10:11], v[10:11], v[2:3]
	v_dual_cndmask_b32 v17, v23, v55, s10 :: v_dual_cndmask_b32 v22, v24, v58, s10
	v_dual_cndmask_b32 v23, v25, v45, s17 :: v_dual_cndmask_b32 v15, v15, v143, s17
	;; [unrolled: 1-line block ×3, first 2 shown]
	s_delay_alu instid0(VALU_DEP_2) | instskip(NEXT) | instid1(VALU_DEP_2)
	v_dual_cndmask_b32 v22, v22, v60, s11 :: v_dual_cndmask_b32 v23, v23, v49, s18
	v_dual_cndmask_b32 v15, v15, v32, s18 :: v_dual_cndmask_b32 v16, v16, v54, s18
	s_delay_alu instid0(VALU_DEP_2) | instskip(NEXT) | instid1(VALU_DEP_3)
	v_dual_cndmask_b32 v24, v17, v51, s12 :: v_dual_cndmask_b32 v22, v22, v62, s12
	v_cndmask_b32_e64 v17, v23, v59, s19
	s_delay_alu instid0(VALU_DEP_3) | instskip(NEXT) | instid1(VALU_DEP_2)
	v_dual_cndmask_b32 v23, v15, v63, s19 :: v_dual_cndmask_b32 v16, v16, v52, s19
	v_dual_cndmask_b32 v22, v22, v34, s13 :: v_dual_cndmask_b32 v15, v17, v57, s20
	s_delay_alu instid0(VALU_DEP_2) | instskip(SKIP_1) | instid1(VALU_DEP_3)
	v_dual_cndmask_b32 v17, v23, v61, s20 :: v_dual_cndmask_b32 v16, v16, v50, s20
	v_dual_cndmask_b32 v23, v24, v140, s13 :: v_dual_cndmask_b32 v24, v29, v131, s8
	v_dual_mul_f64 v[40:41], v[14:15], v[2:3] :: v_dual_cndmask_b32 v14, v28, v68, s9
	s_delay_alu instid0(VALU_DEP_3) | instskip(SKIP_1) | instid1(VALU_DEP_4)
	v_mul_f64_e32 v[42:43], v[16:17], v[2:3]
	v_cndmask_b32_e64 v2, v31, v130, s8
	v_dual_cndmask_b32 v3, v27, v122, s9 :: v_dual_cndmask_b32 v15, v24, v133, s9
	s_delay_alu instid0(VALU_DEP_4) | instskip(SKIP_1) | instid1(VALU_DEP_3)
	v_cndmask_b32_e64 v14, v14, v141, s10
	v_fmac_f64_e32 v[12:13], v[18:19], v[20:21]
	v_dual_cndmask_b32 v2, v2, v132, s9 :: v_dual_cndmask_b32 v3, v3, v45, s10
	s_delay_alu instid0(VALU_DEP_3) | instskip(SKIP_1) | instid1(VALU_DEP_3)
	v_dual_cndmask_b32 v15, v15, v143, s10 :: v_dual_cndmask_b32 v14, v14, v48, s11
	v_fmac_f64_e32 v[10:11], v[22:23], v[20:21]
	v_dual_cndmask_b32 v2, v2, v56, s10 :: v_dual_cndmask_b32 v3, v3, v49, s11
	s_delay_alu instid0(VALU_DEP_3) | instskip(SKIP_1) | instid1(VALU_DEP_3)
	v_dual_cndmask_b32 v15, v15, v32, s11 :: v_dual_cndmask_b32 v14, v14, v46, s12
	v_cmp_eq_u32_e64 s8, 1, v37
	v_dual_cndmask_b32 v2, v2, v54, s11 :: v_dual_cndmask_b32 v3, v3, v59, s12
	s_delay_alu instid0(VALU_DEP_3) | instskip(SKIP_1) | instid1(VALU_DEP_3)
	v_cndmask_b32_e64 v15, v15, v63, s12
	v_cmp_eq_u32_e64 s9, 0, v37
	v_dual_cndmask_b32 v16, v2, v52, s12 :: v_dual_cndmask_b32 v3, v3, v57, s13
	s_delay_alu instid0(VALU_DEP_3) | instskip(NEXT) | instid1(VALU_DEP_2)
	v_dual_cndmask_b32 v2, v14, v44, s13 :: v_dual_cndmask_b32 v15, v15, v61, s13
	v_cndmask_b32_e64 v14, v16, v50, s13
	s_delay_alu instid0(VALU_DEP_2) | instskip(SKIP_1) | instid1(VALU_DEP_3)
	v_fmac_f64_e32 v[40:41], v[2:3], v[20:21]
	v_lshl_add_u32 v2, v37, 2, v134
	v_fmac_f64_e32 v[42:43], v[14:15], v[20:21]
	ds_load_b32 v2, v2 offset:40
	v_cndmask_b32_e32 v29, v114, v13, vcc_lo
	v_dual_cndmask_b32 v28, v74, v12, vcc_lo :: v_dual_cndmask_b32 v27, v116, v13, s2
	v_dual_cndmask_b32 v26, v75, v12, s2 :: v_dual_cndmask_b32 v25, v126, v13, s3
	v_dual_cndmask_b32 v53, v53, v11, s3 :: v_dual_cndmask_b32 v31, v140, v11, vcc_lo
	v_dual_cndmask_b32 v51, v51, v11, s2 :: v_dual_cndmask_b32 v24, v76, v12, s3
	v_dual_cndmask_b32 v55, v55, v11, s4 :: v_dual_cndmask_b32 v23, v128, v13, s4
	;; [unrolled: 1-line block ×10, first 2 shown]
	v_cndmask_b32_e64 v128, v70, v10, s5
	s_wait_dscnt 0x0
	scratch_store_b32 off, v2, off offset:4
	v_dual_cndmask_b32 v126, v71, v10, s6 :: v_dual_cndmask_b32 v112, v72, v10, s7
	v_dual_cndmask_b32 v114, v73, v10, s8 :: v_dual_cndmask_b32 v116, v66, v10, s9
	;; [unrolled: 1-line block ×9, first 2 shown]
	s_wait_xcnt 0x0
	v_dual_cndmask_b32 v3, v144, v43, s7 :: v_dual_cndmask_b32 v2, v142, v42, s7
	v_dual_cndmask_b32 v119, v119, v43, s8 :: v_dual_cndmask_b32 v118, v118, v42, s8
	;; [unrolled: 1-line block ×3, first 2 shown]
	v_dual_cndmask_b32 v30, v34, v10, vcc_lo :: v_dual_cndmask_b32 v60, v60, v10, s3
	v_dual_cndmask_b32 v62, v62, v10, s2 :: v_dual_cndmask_b32 v57, v57, v41, vcc_lo
	v_dual_cndmask_b32 v58, v58, v10, s4 :: v_dual_cndmask_b32 v44, v44, v40, vcc_lo
	v_dual_cndmask_b32 v59, v59, v41, s2 :: v_dual_cndmask_b32 v46, v46, v40, s2
	v_dual_cndmask_b32 v49, v49, v41, s3 :: v_dual_cndmask_b32 v48, v48, v40, s3
	v_dual_cndmask_b32 v45, v45, v41, s4 :: v_dual_cndmask_b32 v50, v50, v42, vcc_lo
	v_dual_cndmask_b32 v10, v141, v40, s4 :: v_dual_cndmask_b32 v63, v63, v43, s2
	v_dual_cndmask_b32 v61, v61, v43, vcc_lo :: v_dual_cndmask_b32 v52, v52, v42, s2
	v_dual_cndmask_b32 v47, v32, v43, s3 :: v_dual_cndmask_b32 v54, v54, v42, s3
	v_dual_cndmask_b32 v11, v143, v43, s4 :: v_dual_cndmask_b32 v56, v56, v42, s4
.LBB2_43:
	s_or_b32 exec_lo, exec_lo, s30
	scratch_store_b32 off, v35, off
	s_wait_xcnt 0x0
	s_and_saveexec_b32 s2, s0
	s_cbranch_execz .LBB2_52
; %bb.44:
	s_mov_b32 s3, 0
	s_branch .LBB2_46
.LBB2_45:                               ;   in Loop: Header=BB2_46 Depth=1
	s_wait_xcnt 0x0
	s_or_b32 exec_lo, exec_lo, s5
	s_wait_dscnt 0x0
	v_cmp_gt_i32_e32 vcc_lo, 0, v32
	v_mov_b32_e32 v38, v32
	s_or_b32 s3, vcc_lo, s3
	s_delay_alu instid0(SALU_CYCLE_1)
	s_and_not1_b32 exec_lo, exec_lo, s3
	s_cbranch_execz .LBB2_52
.LBB2_46:                               ; =>This Inner Loop Header: Depth=1
	s_delay_alu instid0(VALU_DEP_1) | instskip(SKIP_3) | instid1(VALU_DEP_2)
	v_cmp_eq_u32_e32 vcc_lo, 1, v38
	s_mov_b32 s4, 0
	v_dual_cndmask_b32 v32, v13, v15, vcc_lo :: v_dual_cndmask_b32 v34, v12, v14, vcc_lo
	v_cmp_eq_u32_e32 vcc_lo, 2, v38
	v_dual_cndmask_b32 v32, v32, v17, vcc_lo :: v_dual_cndmask_b32 v34, v34, v16, vcc_lo
	v_cmp_eq_u32_e32 vcc_lo, 3, v38
	s_delay_alu instid0(VALU_DEP_2) | instskip(SKIP_1) | instid1(VALU_DEP_2)
	v_dual_cndmask_b32 v32, v32, v19, vcc_lo :: v_dual_cndmask_b32 v34, v34, v18, vcc_lo
	v_cmp_eq_u32_e32 vcc_lo, 4, v38
	v_dual_cndmask_b32 v32, v32, v21, vcc_lo :: v_dual_cndmask_b32 v34, v34, v20, vcc_lo
	v_cmp_eq_u32_e32 vcc_lo, 5, v38
	s_delay_alu instid0(VALU_DEP_2) | instskip(SKIP_1) | instid1(VALU_DEP_2)
	;; [unrolled: 5-line block ×3, first 2 shown]
	v_dual_cndmask_b32 v32, v32, v27, vcc_lo :: v_dual_cndmask_b32 v34, v34, v26, vcc_lo
	v_cmp_eq_u32_e32 vcc_lo, 8, v38
	v_dual_cndmask_b32 v35, v32, v29 :: v_dual_cndmask_b32 v34, v34, v28
	s_delay_alu instid0(VALU_DEP_1) | instskip(SKIP_3) | instid1(SALU_CYCLE_1)
	v_cmp_ngt_f64_e32 vcc_lo, 0, v[34:35]
	v_lshl_add_u32 v34, v38, 2, v134
	ds_load_b32 v32, v34 offset:40
	s_and_saveexec_b32 s5, vcc_lo
	s_xor_b32 s5, exec_lo, s5
	s_cbranch_execnz .LBB2_49
; %bb.47:                               ;   in Loop: Header=BB2_46 Depth=1
	s_or_saveexec_b32 s5, s5
	v_mov_b32_e32 v35, 0
	s_xor_b32 exec_lo, exec_lo, s5
	s_cbranch_execnz .LBB2_50
.LBB2_48:                               ;   in Loop: Header=BB2_46 Depth=1
	s_or_b32 exec_lo, exec_lo, s5
	s_and_saveexec_b32 s5, s4
	s_cbranch_execz .LBB2_45
	s_branch .LBB2_51
.LBB2_49:                               ;   in Loop: Header=BB2_46 Depth=1
	scratch_load_b32 v34, off, off
	s_wait_loadcnt 0x0
	v_cmp_eq_u32_e32 vcc_lo, -1, v34
                                        ; implicit-def: $vgpr34
	s_and_b32 s4, vcc_lo, exec_lo
	s_wait_xcnt 0x0
	s_or_saveexec_b32 s5, s5
	v_mov_b32_e32 v35, 0
	s_xor_b32 exec_lo, exec_lo, s5
	s_cbranch_execz .LBB2_48
.LBB2_50:                               ;   in Loop: Header=BB2_46 Depth=1
	scratch_load_b32 v40, off, off offset:4
	v_mov_b32_e32 v35, 4
	s_or_b32 s4, s4, exec_lo
	s_wait_loadcnt 0x0
	ds_store_b32 v34, v40 offset:40
	s_wait_xcnt 0x0
	s_or_b32 exec_lo, exec_lo, s5
	s_and_saveexec_b32 s5, s4
	s_cbranch_execz .LBB2_45
.LBB2_51:                               ;   in Loop: Header=BB2_46 Depth=1
	scratch_store_b32 v35, v38, off
	s_branch .LBB2_45
.LBB2_52:
	s_or_b32 exec_lo, exec_lo, s2
	s_and_saveexec_b32 s2, s1
	s_cbranch_execz .LBB2_54
; %bb.53:
	v_cmp_gt_f64_e32 vcc_lo, 0, v[0:1]
	v_lshl_add_u32 v32, v39, 2, v134
	v_lshl_add_u32 v1, v36, 2, v134
	;; [unrolled: 1-line block ×3, first 2 shown]
	s_and_b32 s0, s0, vcc_lo
	s_delay_alu instid0(SALU_CYCLE_1) | instskip(NEXT) | instid1(SALU_CYCLE_1)
	s_or_b32 s0, s27, s0
	v_cndmask_b32_e64 v33, v33, -1, s0
	ds_store_b32 v32, v36 offset:40
	ds_store_b32 v1, v37 offset:40
	;; [unrolled: 1-line block ×3, first 2 shown]
.LBB2_54:
	s_or_b32 exec_lo, exec_lo, s2
	scratch_load_b32 v38, off, off
	v_mov_b64_e32 v[34:35], -1
	s_mov_b32 s27, 0
	v_dual_mov_b32 v39, -1 :: v_dual_mov_b32 v40, -1
	s_wait_loadcnt 0x0
	v_cmp_eq_u32_e32 vcc_lo, 1, v38
	v_cmp_eq_u32_e64 s0, 2, v38
	v_dual_cndmask_b32 v0, v111, v109 :: v_dual_cndmask_b32 v1, v110, v108
	v_cmp_eq_u32_e32 vcc_lo, 3, v38
	s_delay_alu instid0(VALU_DEP_2) | instskip(SKIP_1) | instid1(VALU_DEP_2)
	v_dual_cndmask_b32 v0, v0, v107, s0 :: v_dual_cndmask_b32 v1, v1, v106, s0
	v_cmp_lt_i32_e64 s0, -1, v38
	v_dual_cndmask_b32 v0, v0, v123 :: v_dual_cndmask_b32 v1, v1, v122
	v_cmp_eq_u32_e32 vcc_lo, 4, v38
	s_delay_alu instid0(VALU_DEP_2) | instskip(SKIP_1) | instid1(VALU_DEP_2)
	v_dual_cndmask_b32 v0, v0, v125 :: v_dual_cndmask_b32 v1, v1, v124
	v_cmp_eq_u32_e32 vcc_lo, 5, v38
	v_dual_cndmask_b32 v0, v0, v45 :: v_dual_cndmask_b32 v1, v1, v10
	v_cmp_eq_u32_e32 vcc_lo, 6, v38
	s_delay_alu instid0(VALU_DEP_2) | instskip(SKIP_1) | instid1(VALU_DEP_2)
	v_dual_cndmask_b32 v0, v0, v49 :: v_dual_cndmask_b32 v1, v1, v48
	v_cmp_eq_u32_e32 vcc_lo, 7, v38
	v_dual_cndmask_b32 v0, v0, v59, vcc_lo :: v_dual_cndmask_b32 v32, v1, v46, vcc_lo
	v_cmp_eq_u32_e32 vcc_lo, 8, v38
	s_delay_alu instid0(VALU_DEP_2) | instskip(NEXT) | instid1(VALU_DEP_3)
	v_cndmask_b32_e32 v1, v0, v57, vcc_lo
	v_cndmask_b32_e32 v0, v32, v44, vcc_lo
	v_mov_b64_e32 v[32:33], -1
	s_wait_xcnt 0x0
	s_and_saveexec_b32 s5, s0
	s_cbranch_execz .LBB2_58
; %bb.55:
	v_mov_b64_e32 v[36:37], v[0:1]
	v_dual_mov_b32 v39, -1 :: v_dual_mov_b32 v33, v38
	v_dual_mov_b32 v32, -1 :: v_dual_mov_b32 v34, -1
	v_mov_b32_e32 v40, -1
	s_mov_b32 s6, 0
                                        ; implicit-def: $sgpr7
.LBB2_56:                               ; =>This Inner Loop Header: Depth=1
	s_delay_alu instid0(VALU_DEP_3)
	v_lshl_add_u32 v35, v33, 2, v134
	v_cmp_le_f64_e32 vcc_lo, 0, v[36:37]
	v_cmp_gt_f64_e64 s1, 0, v[36:37]
	ds_load_b32 v35, v35 offset:40
	s_wait_dscnt 0x0
	v_cmp_gt_i32_e64 s2, 0, v35
	s_delay_alu instid0(VALU_DEP_1) | instskip(NEXT) | instid1(VALU_DEP_1)
	v_cndmask_b32_e64 v41, v35, v38, s2
	v_cmp_eq_u32_e64 s3, 1, v41
	v_cmp_eq_u32_e64 s4, 2, v41
	s_delay_alu instid0(VALU_DEP_2) | instskip(NEXT) | instid1(VALU_DEP_1)
	v_dual_cndmask_b32 v36, v111, v109, s3 :: v_dual_cndmask_b32 v37, v110, v108, s3
	v_cndmask_b32_e64 v36, v36, v107, s4
	v_cmp_eq_u32_e64 s3, 3, v41
	s_delay_alu instid0(VALU_DEP_1) | instskip(NEXT) | instid1(VALU_DEP_1)
	v_dual_cndmask_b32 v37, v37, v106, s4 :: v_dual_cndmask_b32 v36, v36, v123, s3
	v_cndmask_b32_e64 v37, v37, v122, s3
	v_cmp_eq_u32_e64 s3, 4, v41
	s_delay_alu instid0(VALU_DEP_1) | instskip(SKIP_1) | instid1(VALU_DEP_1)
	v_dual_cndmask_b32 v36, v36, v125, s3 :: v_dual_cndmask_b32 v37, v37, v124, s3
	v_cmp_eq_u32_e64 s3, 5, v41
	v_dual_cndmask_b32 v36, v36, v45, s3 :: v_dual_cndmask_b32 v37, v37, v10, s3
	v_cmp_eq_u32_e64 s3, 6, v41
	s_delay_alu instid0(VALU_DEP_1) | instskip(SKIP_1) | instid1(VALU_DEP_1)
	v_dual_cndmask_b32 v36, v36, v49, s3 :: v_dual_cndmask_b32 v37, v37, v48, s3
	v_cmp_eq_u32_e64 s3, 7, v41
	v_dual_cndmask_b32 v36, v36, v59, s3 :: v_dual_cndmask_b32 v42, v37, v46, s3
	v_cmp_eq_u32_e64 s3, 8, v41
	s_delay_alu instid0(VALU_DEP_1) | instskip(NEXT) | instid1(VALU_DEP_1)
	v_dual_cndmask_b32 v37, v36, v57, s3 :: v_dual_cndmask_b32 v36, v42, v44, s3
	v_cmp_gt_f64_e64 s3, 0, v[36:37]
	v_cmp_le_f64_e64 s4, 0, v[36:37]
	s_and_b32 vcc_lo, vcc_lo, s3
	s_and_b32 s3, s1, s4
	s_delay_alu instid0(SALU_CYCLE_1)
	v_dual_cndmask_b32 v34, v34, v41, vcc_lo :: v_dual_cndmask_b32 v40, v40, v41, s3
	v_dual_cndmask_b32 v39, v39, v33, vcc_lo :: v_dual_cndmask_b32 v32, v32, v33, s3
	s_or_b32 s6, s2, s6
	v_mov_b32_e32 v33, v35
	s_and_not1_b32 s2, s7, exec_lo
	s_and_b32 s1, s1, exec_lo
	s_delay_alu instid0(SALU_CYCLE_1)
	s_or_b32 s7, s2, s1
	s_and_not1_b32 exec_lo, exec_lo, s6
	s_cbranch_execnz .LBB2_56
; %bb.57:
	s_or_b32 exec_lo, exec_lo, s6
	s_delay_alu instid0(SALU_CYCLE_1)
	s_and_b32 s27, s7, exec_lo
.LBB2_58:
	s_or_b32 exec_lo, exec_lo, s5
	v_dual_mov_b32 v33, -1 :: v_dual_mov_b32 v35, -1
	v_cmp_lt_i32_e64 s1, -1, v39
	v_mov_b32_e32 v36, -1
	s_and_saveexec_b32 s30, s1
	s_cbranch_execz .LBB2_60
; %bb.59:
	v_cmp_eq_u32_e64 s2, 1, v34
	v_cmp_eq_u32_e64 s3, 2, v34
	;; [unrolled: 1-line block ×5, first 2 shown]
	v_cndmask_b32_e64 v35, v111, v109, s2
	v_cmp_eq_u32_e64 s7, 6, v34
	v_cmp_eq_u32_e64 s8, 7, v34
	v_cmp_eq_u32_e64 s9, 8, v34
	s_delay_alu instid0(VALU_DEP_4) | instskip(SKIP_3) | instid1(VALU_DEP_4)
	v_dual_cndmask_b32 v34, v110, v108, s2 :: v_dual_cndmask_b32 v35, v35, v107, s3
	v_cmp_eq_u32_e64 s10, 1, v39
	v_cmp_eq_u32_e64 s11, 2, v39
	;; [unrolled: 1-line block ×3, first 2 shown]
	v_dual_cndmask_b32 v34, v34, v106, s3 :: v_dual_cndmask_b32 v35, v35, v123, s4
	v_cmp_eq_u32_e64 s13, 4, v39
	v_cmp_eq_u32_e64 s15, 5, v39
	;; [unrolled: 1-line block ×3, first 2 shown]
	s_delay_alu instid0(VALU_DEP_4) | instskip(SKIP_2) | instid1(VALU_DEP_3)
	v_dual_cndmask_b32 v34, v34, v122, s4 :: v_dual_cndmask_b32 v35, v35, v125, s5
	v_cmp_eq_u32_e64 s17, 7, v39
	v_cmp_eq_u32_e64 s18, 8, v39
	v_dual_cndmask_b32 v34, v34, v124, s5 :: v_dual_cndmask_b32 v35, v35, v45, s6
	s_delay_alu instid0(VALU_DEP_1) | instskip(NEXT) | instid1(VALU_DEP_1)
	v_dual_cndmask_b32 v34, v34, v10, s6 :: v_dual_cndmask_b32 v35, v35, v49, s7
	v_dual_cndmask_b32 v34, v34, v48, s7 :: v_dual_cndmask_b32 v35, v35, v59, s8
	s_delay_alu instid0(VALU_DEP_1) | instskip(SKIP_1) | instid1(VALU_DEP_2)
	v_dual_cndmask_b32 v34, v34, v46, s8 :: v_dual_cndmask_b32 v37, v35, v57, s9
	v_cndmask_b32_e64 v35, v110, v108, s10
	v_dual_cndmask_b32 v36, v34, v44, s9 :: v_dual_cndmask_b32 v34, v111, v109, s10
	s_delay_alu instid0(VALU_DEP_1) | instskip(NEXT) | instid1(VALU_DEP_1)
	v_dual_cndmask_b32 v35, v35, v106, s11 :: v_dual_cndmask_b32 v34, v34, v107, s11
	v_dual_cndmask_b32 v35, v35, v122, s12 :: v_dual_cndmask_b32 v34, v34, v123, s12
	s_delay_alu instid0(VALU_DEP_1) | instskip(NEXT) | instid1(VALU_DEP_1)
	v_dual_cndmask_b32 v35, v35, v124, s13 :: v_dual_cndmask_b32 v34, v34, v125, s13
	;; [unrolled: 3-line block ×3, first 2 shown]
	v_dual_cndmask_b32 v35, v35, v46, s17 :: v_dual_cndmask_b32 v34, v34, v59, s17
	s_delay_alu instid0(VALU_DEP_1) | instskip(SKIP_1) | instid1(VALU_DEP_2)
	v_dual_cndmask_b32 v42, v35, v44, s18 :: v_dual_cndmask_b32 v43, v34, v57, s18
	v_add_f64_e64 v[34:35], -v[36:37], 0
	v_add_f64_e64 v[64:65], v[42:43], -v[36:37]
	s_delay_alu instid0(VALU_DEP_1) | instskip(NEXT) | instid1(VALU_DEP_1)
	v_div_scale_f64 v[66:67], null, v[64:65], v[64:65], v[34:35]
	v_rcp_f64_e32 v[68:69], v[66:67]
	v_nop
	s_delay_alu instid0(TRANS32_DEP_1) | instskip(NEXT) | instid1(VALU_DEP_1)
	v_fma_f64 v[70:71], -v[66:67], v[68:69], 1.0
	v_fmac_f64_e32 v[68:69], v[68:69], v[70:71]
	s_delay_alu instid0(VALU_DEP_1) | instskip(NEXT) | instid1(VALU_DEP_1)
	v_fma_f64 v[70:71], -v[66:67], v[68:69], 1.0
	v_fmac_f64_e32 v[68:69], v[68:69], v[70:71]
	v_div_scale_f64 v[70:71], vcc_lo, v[34:35], v[64:65], v[34:35]
	s_delay_alu instid0(VALU_DEP_1) | instskip(NEXT) | instid1(VALU_DEP_1)
	v_mul_f64_e32 v[72:73], v[70:71], v[68:69]
	v_fma_f64 v[66:67], -v[66:67], v[72:73], v[70:71]
	s_delay_alu instid0(VALU_DEP_1) | instskip(NEXT) | instid1(VALU_DEP_1)
	v_div_fmas_f64 v[66:67], v[66:67], v[68:69], v[72:73]
	v_div_fixup_f64 v[64:65], v[66:67], v[64:65], v[34:35]
	v_dual_cndmask_b32 v34, v117, v115, s10 :: v_dual_cndmask_b32 v35, v116, v114, s10
	s_delay_alu instid0(VALU_DEP_1) | instskip(NEXT) | instid1(VALU_DEP_1)
	v_dual_cndmask_b32 v66, v116, v114, s2 :: v_dual_cndmask_b32 v34, v34, v113, s11
	v_dual_cndmask_b32 v35, v35, v112, s11 :: v_dual_cndmask_b32 v34, v34, v127, s12
	s_delay_alu instid0(VALU_DEP_1) | instskip(NEXT) | instid1(VALU_DEP_1)
	v_dual_cndmask_b32 v35, v35, v126, s12 :: v_dual_cndmask_b32 v34, v34, v129, s13
	;; [unrolled: 3-line block ×3, first 2 shown]
	v_dual_cndmask_b32 v35, v35, v60, s16 :: v_dual_cndmask_b32 v34, v34, v51, s17
	s_delay_alu instid0(VALU_DEP_1) | instskip(SKIP_1) | instid1(VALU_DEP_2)
	v_cndmask_b32_e64 v41, v35, v62, s17
	v_add_f64_e64 v[68:69], -v[64:65], 1.0
	v_dual_cndmask_b32 v35, v34, v31, s18 :: v_dual_cndmask_b32 v34, v41, v30, s18
	v_cndmask_b32_e64 v41, v117, v115, s2
	s_delay_alu instid0(VALU_DEP_1) | instskip(NEXT) | instid1(VALU_DEP_1)
	v_dual_cndmask_b32 v41, v41, v113, s3 :: v_dual_cndmask_b32 v66, v66, v112, s3
	v_dual_cndmask_b32 v41, v41, v127, s4 :: v_dual_cndmask_b32 v66, v66, v126, s4
	s_delay_alu instid0(VALU_DEP_1) | instskip(NEXT) | instid1(VALU_DEP_1)
	v_dual_cndmask_b32 v41, v41, v129, s5 :: v_dual_cndmask_b32 v66, v66, v128, s5
	v_dual_cndmask_b32 v41, v41, v55, s6 :: v_dual_cndmask_b32 v66, v66, v58, s6
	;; [unrolled: 3-line block ×3, first 2 shown]
	s_delay_alu instid0(VALU_DEP_1) | instskip(NEXT) | instid1(VALU_DEP_1)
	v_dual_cndmask_b32 v67, v41, v31, s9 :: v_dual_cndmask_b32 v66, v66, v30, s9
	v_mul_f64_e32 v[66:67], v[66:67], v[68:69]
	s_delay_alu instid0(VALU_DEP_1)
	v_fmac_f64_e32 v[66:67], v[34:35], v[64:65]
	scratch_load_b32 v35, off, off offset:4
	s_wait_loadcnt 0x0
	v_cmp_eq_u32_e64 s24, 8, v35
	v_cmp_eq_u32_e32 vcc_lo, 6, v35
	v_cmp_eq_u32_e64 s25, 7, v35
	v_cmp_eq_u32_e64 s14, 5, v35
	;; [unrolled: 1-line block ×3, first 2 shown]
	v_dual_cndmask_b32 v30, v30, v66, s24 :: v_dual_cndmask_b32 v41, v60, v66, vcc_lo
	s_delay_alu instid0(VALU_DEP_4) | instskip(SKIP_3) | instid1(VALU_DEP_4)
	v_dual_cndmask_b32 v60, v13, v15, s2 :: v_dual_cndmask_b32 v34, v62, v66, s25
	v_cndmask_b32_e64 v62, v12, v14, s2
	v_cmp_eq_u32_e64 s19, 3, v35
	v_cmp_eq_u32_e64 s20, 2, v35
	v_dual_cndmask_b32 v60, v60, v17, s3 :: v_dual_cndmask_b32 v58, v58, v66, s14
	v_cmp_eq_u32_e64 s21, 1, v35
	v_cmp_eq_u32_e64 s22, 0, v35
	v_cndmask_b32_e64 v51, v51, v67, s25
	s_delay_alu instid0(VALU_DEP_4) | instskip(SKIP_1) | instid1(VALU_DEP_4)
	v_dual_cndmask_b32 v60, v60, v19, s4 :: v_dual_cndmask_b32 v62, v62, v16, s3
	v_dual_cndmask_b32 v31, v31, v67, s24 :: v_dual_cndmask_b32 v53, v53, v67, vcc_lo
	v_cndmask_b32_e64 v74, v116, v66, s22
	s_delay_alu instid0(VALU_DEP_3) | instskip(SKIP_1) | instid1(VALU_DEP_2)
	v_dual_cndmask_b32 v60, v60, v21, s5 :: v_dual_cndmask_b32 v62, v62, v18, s4
	v_cndmask_b32_e64 v115, v115, v67, s21
	v_dual_cndmask_b32 v60, v60, v23, s6 :: v_dual_cndmask_b32 v62, v62, v20, s5
	s_delay_alu instid0(VALU_DEP_1) | instskip(NEXT) | instid1(VALU_DEP_1)
	v_dual_cndmask_b32 v60, v60, v25, s7 :: v_dual_cndmask_b32 v62, v62, v22, s6
	v_dual_cndmask_b32 v60, v60, v27, s8 :: v_dual_cndmask_b32 v62, v62, v24, s7
	s_delay_alu instid0(VALU_DEP_1) | instskip(NEXT) | instid1(VALU_DEP_1)
	v_dual_cndmask_b32 v71, v60, v29, s9 :: v_dual_cndmask_b32 v62, v62, v26, s8
	v_dual_cndmask_b32 v60, v13, v15, s10 :: v_dual_cndmask_b32 v70, v62, v28, s9
	s_delay_alu instid0(VALU_DEP_1) | instskip(NEXT) | instid1(VALU_DEP_2)
	v_cndmask_b32_e64 v60, v60, v17, s11
	v_dual_mul_f64 v[70:71], v[70:71], v[68:69] :: v_dual_cndmask_b32 v62, v12, v14, s10
	s_delay_alu instid0(VALU_DEP_1) | instskip(NEXT) | instid1(VALU_DEP_1)
	v_dual_cndmask_b32 v60, v60, v19, s12 :: v_dual_cndmask_b32 v62, v62, v16, s11
	v_dual_cndmask_b32 v60, v60, v21, s13 :: v_dual_cndmask_b32 v62, v62, v18, s12
	s_delay_alu instid0(VALU_DEP_1) | instskip(NEXT) | instid1(VALU_DEP_1)
	v_dual_cndmask_b32 v60, v60, v23, s15 :: v_dual_cndmask_b32 v62, v62, v20, s13
	v_dual_cndmask_b32 v60, v60, v25, s16 :: v_dual_cndmask_b32 v62, v62, v22, s15
	s_delay_alu instid0(VALU_DEP_1) | instskip(NEXT) | instid1(VALU_DEP_1)
	v_dual_cndmask_b32 v60, v60, v27, s17 :: v_dual_cndmask_b32 v62, v62, v24, s16
	v_dual_cndmask_b32 v73, v60, v29, s18 :: v_dual_cndmask_b32 v62, v62, v26, s17
	s_delay_alu instid0(VALU_DEP_1) | instskip(SKIP_1) | instid1(VALU_DEP_2)
	v_dual_cndmask_b32 v60, v128, v66, s23 :: v_dual_cndmask_b32 v72, v62, v28, s18
	v_cndmask_b32_e64 v62, v126, v66, s19
	v_fmac_f64_e32 v[70:71], v[72:73], v[64:65]
	v_dual_cndmask_b32 v72, v112, v66, s20 :: v_dual_cndmask_b32 v73, v114, v66, s21
	s_delay_alu instid0(VALU_DEP_2)
	v_dual_cndmask_b32 v75, v28, v70, s24 :: v_dual_cndmask_b32 v76, v26, v70, s25
	v_dual_cndmask_b32 v77, v24, v70, vcc_lo :: v_dual_cndmask_b32 v78, v22, v70, s14
	v_dual_cndmask_b32 v79, v20, v70, s23 :: v_dual_cndmask_b32 v80, v18, v70, s19
	v_dual_cndmask_b32 v81, v16, v70, s20 :: v_dual_cndmask_b32 v112, v14, v70, s21
	;; [unrolled: 1-line block ×3, first 2 shown]
	v_dual_cndmask_b32 v116, v27, v71, s25 :: v_dual_cndmask_b32 v126, v25, v71, vcc_lo
	v_dual_cndmask_b32 v128, v23, v71, s14 :: v_dual_cndmask_b32 v135, v21, v71, s23
	v_dual_cndmask_b32 v136, v19, v71, s19 :: v_dual_cndmask_b32 v137, v17, v71, s20
	v_dual_cndmask_b32 v138, v15, v71, s21 :: v_dual_cndmask_b32 v71, v13, v71, s22
	v_mul_f64_e32 v[12:13], v[36:37], v[68:69]
	v_dual_cndmask_b32 v14, v120, v118, s2 :: v_dual_cndmask_b32 v16, v120, v118, s10
	s_delay_alu instid0(VALU_DEP_1) | instskip(NEXT) | instid1(VALU_DEP_1)
	v_dual_cndmask_b32 v14, v14, v2, s3 :: v_dual_cndmask_b32 v16, v16, v2, s11
	v_cndmask_b32_e64 v16, v16, v130, s12
	s_delay_alu instid0(VALU_DEP_1) | instskip(NEXT) | instid1(VALU_DEP_1)
	v_cndmask_b32_e64 v16, v16, v132, s13
	v_cndmask_b32_e64 v16, v16, v56, s15
	s_delay_alu instid0(VALU_DEP_1) | instskip(SKIP_1) | instid1(VALU_DEP_2)
	v_cndmask_b32_e64 v16, v16, v54, s16
	v_fmac_f64_e32 v[12:13], v[42:43], v[64:65]
	v_dual_cndmask_b32 v16, v16, v52, s17 :: v_dual_cndmask_b32 v55, v55, v67, s14
	s_delay_alu instid0(VALU_DEP_1) | instskip(NEXT) | instid1(VALU_DEP_3)
	v_dual_cndmask_b32 v16, v16, v50, s18 :: v_dual_cndmask_b32 v139, v10, v12, s14
	v_cndmask_b32_e64 v57, v57, v13, s24
	v_cndmask_b32_e64 v10, v121, v119, s2
	v_dual_cndmask_b32 v140, v45, v13, s14 :: v_dual_cndmask_b32 v106, v106, v12, s20
	v_dual_cndmask_b32 v107, v107, v13, s20 :: v_dual_cndmask_b32 v108, v108, v12, s21
	s_delay_alu instid0(VALU_DEP_3) | instskip(SKIP_2) | instid1(VALU_DEP_3)
	v_dual_cndmask_b32 v10, v10, v3, s3 :: v_dual_cndmask_b32 v109, v109, v13, s21
	v_dual_cndmask_b32 v111, v111, v13, s22 :: v_dual_cndmask_b32 v37, v44, v12, s24
	v_dual_cndmask_b32 v46, v46, v12, s25 :: v_dual_cndmask_b32 v48, v48, v12, vcc_lo
	v_dual_cndmask_b32 v10, v10, v131, s4 :: v_dual_cndmask_b32 v59, v59, v13, s25
	v_dual_cndmask_b32 v49, v49, v13, vcc_lo :: v_dual_cndmask_b32 v123, v123, v13, s19
	v_cmp_eq_u32_e64 s2, 3, v40
	s_delay_alu instid0(VALU_DEP_3) | instskip(SKIP_1) | instid1(VALU_DEP_2)
	v_cndmask_b32_e64 v10, v10, v133, s5
	v_cmp_eq_u32_e64 s3, 4, v40
	v_cndmask_b32_e64 v10, v10, v11, s6
	s_delay_alu instid0(VALU_DEP_1) | instskip(NEXT) | instid1(VALU_DEP_1)
	v_cndmask_b32_e64 v10, v10, v47, s7
	v_cndmask_b32_e64 v10, v10, v63, s8
	s_delay_alu instid0(VALU_DEP_1) | instskip(SKIP_3) | instid1(VALU_DEP_4)
	v_dual_cndmask_b32 v15, v10, v61, s9 :: v_dual_cndmask_b32 v10, v121, v119, s10
	v_cndmask_b32_e64 v14, v14, v130, s4
	v_cmp_eq_u32_e64 s10, 5, v32
	v_cmp_eq_u32_e64 s4, 5, v40
	v_cndmask_b32_e64 v10, v10, v3, s11
	s_delay_alu instid0(VALU_DEP_4) | instskip(SKIP_2) | instid1(VALU_DEP_4)
	v_cndmask_b32_e64 v14, v14, v132, s5
	v_cmp_eq_u32_e64 s11, 6, v32
	v_cmp_eq_u32_e64 s5, 6, v40
	v_cndmask_b32_e64 v10, v10, v131, s12
	s_delay_alu instid0(VALU_DEP_4) | instskip(SKIP_2) | instid1(VALU_DEP_4)
	;; [unrolled: 5-line block ×3, first 2 shown]
	v_cndmask_b32_e64 v14, v14, v54, s7
	v_cmp_eq_u32_e64 s13, 8, v32
	v_cmp_eq_u32_e64 s7, 8, v40
	v_cndmask_b32_e64 v10, v10, v11, s15
	s_delay_alu instid0(VALU_DEP_4)
	v_cndmask_b32_e64 v14, v14, v52, s8
	v_cmp_eq_u32_e64 s8, 1, v32
	v_cndmask_b32_e64 v110, v110, v12, s22
	v_cmp_eq_u32_e64 s15, 3, v32
	v_cndmask_b32_e64 v10, v10, v47, s16
	v_cndmask_b32_e64 v14, v14, v50, s9
	v_cmp_eq_u32_e64 s16, 2, v32
	v_cmp_eq_u32_e64 s9, 4, v32
	s_delay_alu instid0(VALU_DEP_3) | instskip(SKIP_3) | instid1(VALU_DEP_2)
	v_mul_f64_e32 v[14:15], v[14:15], v[68:69]
	v_dual_cndmask_b32 v69, v122, v12, s19 :: v_dual_cndmask_b32 v122, v125, v13, s23
	v_dual_cndmask_b32 v10, v10, v63, s17 :: v_dual_cndmask_b32 v68, v124, v12, s23
	v_cmp_eq_u32_e64 s17, 2, v40
	v_dual_cndmask_b32 v124, v127, v67, s19 :: v_dual_cndmask_b32 v17, v10, v61, s18
	v_cmp_eq_u32_e64 s18, 1, v40
	v_dual_cndmask_b32 v10, v111, v109, s8 :: v_dual_cndmask_b32 v12, v110, v108, s8
	s_delay_alu instid0(VALU_DEP_1) | instskip(NEXT) | instid1(VALU_DEP_1)
	v_dual_cndmask_b32 v13, v111, v109, s18 :: v_dual_cndmask_b32 v10, v10, v107, s16
	v_dual_cndmask_b32 v12, v12, v106, s16 :: v_dual_cndmask_b32 v10, v10, v123, s15
	s_delay_alu instid0(VALU_DEP_1) | instskip(NEXT) | instid1(VALU_DEP_1)
	v_dual_cndmask_b32 v12, v12, v69, s15 :: v_dual_cndmask_b32 v10, v10, v122, s9
	v_cndmask_b32_e64 v12, v12, v68, s9
	s_delay_alu instid0(VALU_DEP_1) | instskip(SKIP_2) | instid1(VALU_DEP_3)
	v_dual_cndmask_b32 v10, v10, v140, s10 :: v_dual_cndmask_b32 v12, v12, v139, s10
	v_fmac_f64_e32 v[14:15], v[16:17], v[64:65]
	v_dual_cndmask_b32 v16, v110, v108, s18 :: v_dual_cndmask_b32 v13, v13, v107, s17
	v_dual_cndmask_b32 v10, v10, v49, s11 :: v_dual_cndmask_b32 v12, v12, v48, s11
	s_delay_alu instid0(VALU_DEP_2) | instskip(NEXT) | instid1(VALU_DEP_3)
	v_dual_cndmask_b32 v117, v117, v67, s22 :: v_dual_cndmask_b32 v16, v16, v106, s17
	v_cndmask_b32_e64 v13, v13, v123, s2
	s_delay_alu instid0(VALU_DEP_3) | instskip(NEXT) | instid1(VALU_DEP_3)
	v_dual_cndmask_b32 v10, v10, v59, s12 :: v_dual_cndmask_b32 v12, v12, v46, s12
	v_dual_cndmask_b32 v113, v113, v67, s20 :: v_dual_cndmask_b32 v16, v16, v69, s2
	s_delay_alu instid0(VALU_DEP_2) | instskip(NEXT) | instid1(VALU_DEP_2)
	v_dual_cndmask_b32 v13, v13, v122, s3 :: v_dual_cndmask_b32 v12, v12, v37, s13
	v_cndmask_b32_e64 v16, v16, v68, s3
	s_delay_alu instid0(VALU_DEP_1) | instskip(NEXT) | instid1(VALU_DEP_1)
	v_dual_cndmask_b32 v13, v13, v140, s4 :: v_dual_cndmask_b32 v16, v16, v139, s4
	v_dual_cndmask_b32 v13, v13, v49, s5 :: v_dual_cndmask_b32 v16, v16, v48, s5
	s_delay_alu instid0(VALU_DEP_1) | instskip(SKIP_2) | instid1(VALU_DEP_3)
	v_dual_cndmask_b32 v17, v13, v59, s6 :: v_dual_cndmask_b32 v16, v16, v46, s6
	v_cndmask_b32_e64 v50, v50, v14, s24
	v_cndmask_b32_e32 v54, v54, v14, vcc_lo
	v_dual_cndmask_b32 v13, v10, v57, s13 :: v_dual_cndmask_b32 v17, v17, v57, s7
	s_delay_alu instid0(VALU_DEP_4) | instskip(SKIP_1) | instid1(VALU_DEP_3)
	v_dual_cndmask_b32 v16, v16, v37, s7 :: v_dual_cndmask_b32 v32, v47, v15, vcc_lo
	v_dual_cndmask_b32 v142, v11, v15, s14 :: v_dual_cndmask_b32 v133, v133, v15, s23
	v_add_f64_e64 v[18:19], -v[12:13], 0
	s_delay_alu instid0(VALU_DEP_3)
	v_dual_add_f64 v[20:21], v[16:17], -v[12:13] :: v_dual_cndmask_b32 v141, v2, v14, s20
	v_dual_cndmask_b32 v143, v3, v15, s20 :: v_dual_cndmask_b32 v3, v74, v73, s18
	v_cndmask_b32_e64 v52, v52, v14, s25
	v_dual_cndmask_b32 v56, v56, v14, s14 :: v_dual_cndmask_b32 v61, v61, v15, s24
	v_cndmask_b32_e64 v63, v63, v15, s25
	;; [unrolled: 2-line block ×3, first 2 shown]
	v_dual_cndmask_b32 v118, v118, v14, s21 :: v_dual_cndmask_b32 v120, v120, v14, s22
	v_dual_cndmask_b32 v131, v131, v15, s19 :: v_dual_cndmask_b32 v121, v121, v15, s22
	;; [unrolled: 1-line block ×4, first 2 shown]
	v_cndmask_b32_e64 v3, v3, v72, s17
	s_delay_alu instid0(VALU_DEP_2) | instskip(NEXT) | instid1(VALU_DEP_1)
	v_dual_cndmask_b32 v15, v15, v72, s16 :: v_dual_cndmask_b32 v2, v2, v113, s17
	v_dual_cndmask_b32 v14, v14, v113, s16 :: v_dual_cndmask_b32 v15, v15, v62, s15
	s_delay_alu instid0(VALU_DEP_1) | instskip(SKIP_2) | instid1(VALU_DEP_3)
	v_cndmask_b32_e64 v14, v14, v124, s15
	v_div_scale_f64 v[22:23], null, v[20:21], v[20:21], v[18:19]
	v_div_scale_f64 v[28:29], vcc_lo, v[18:19], v[20:21], v[18:19]
	v_cndmask_b32_e64 v14, v14, v47, s9
	s_delay_alu instid0(VALU_DEP_3) | instskip(SKIP_1) | instid1(TRANS32_DEP_1)
	v_rcp_f64_e32 v[24:25], v[22:23]
	v_nop
	v_fma_f64 v[26:27], -v[22:23], v[24:25], 1.0
	s_delay_alu instid0(VALU_DEP_1) | instskip(NEXT) | instid1(VALU_DEP_1)
	v_fmac_f64_e32 v[24:25], v[24:25], v[26:27]
	v_fma_f64 v[26:27], -v[22:23], v[24:25], 1.0
	s_delay_alu instid0(VALU_DEP_1) | instskip(NEXT) | instid1(VALU_DEP_1)
	v_fmac_f64_e32 v[24:25], v[24:25], v[26:27]
	v_mul_f64_e32 v[26:27], v[28:29], v[24:25]
	s_delay_alu instid0(VALU_DEP_1) | instskip(NEXT) | instid1(VALU_DEP_1)
	v_fma_f64 v[22:23], -v[22:23], v[26:27], v[28:29]
	v_div_fmas_f64 v[22:23], v[22:23], v[24:25], v[26:27]
	v_dual_cndmask_b32 v26, v2, v124, s2 :: v_dual_cndmask_b32 v27, v3, v62, s2
	v_dual_cndmask_b32 v24, v121, v119, s8 :: v_dual_cndmask_b32 v25, v120, v118, s8
	s_delay_alu instid0(VALU_DEP_1) | instskip(NEXT) | instid1(VALU_DEP_1)
	v_dual_cndmask_b32 v24, v24, v143, s16 :: v_dual_cndmask_b32 v25, v25, v141, s16
	v_cndmask_b32_e64 v25, v25, v130, s15
	v_div_fixup_f64 v[10:11], v[22:23], v[20:21], v[18:19]
	v_dual_cndmask_b32 v18, v71, v138, s18 :: v_dual_cndmask_b32 v19, v70, v112, s18
	v_dual_cndmask_b32 v20, v71, v138, s8 :: v_dual_cndmask_b32 v21, v70, v112, s8
	;; [unrolled: 1-line block ×3, first 2 shown]
	s_delay_alu instid0(VALU_DEP_2) | instskip(NEXT) | instid1(VALU_DEP_3)
	v_dual_cndmask_b32 v18, v18, v137, s17 :: v_dual_cndmask_b32 v20, v20, v137, s16
	v_dual_cndmask_b32 v19, v19, v81, s17 :: v_dual_cndmask_b32 v21, v21, v81, s16
	s_delay_alu instid0(VALU_DEP_3) | instskip(NEXT) | instid1(VALU_DEP_3)
	v_dual_cndmask_b32 v22, v22, v143, s17 :: v_dual_cndmask_b32 v23, v23, v141, s17
	v_dual_cndmask_b32 v20, v20, v136, s15 :: v_dual_cndmask_b32 v28, v18, v136, s2
	s_delay_alu instid0(VALU_DEP_3) | instskip(NEXT) | instid1(VALU_DEP_2)
	v_cndmask_b32_e64 v21, v21, v80, s15
	v_dual_cndmask_b32 v15, v15, v60, s9 :: v_dual_cndmask_b32 v18, v20, v135, s9
	v_cndmask_b32_e64 v14, v14, v55, s10
	s_delay_alu instid0(VALU_DEP_3) | instskip(NEXT) | instid1(VALU_DEP_3)
	v_dual_cndmask_b32 v20, v21, v79, s9 :: v_dual_cndmask_b32 v21, v19, v80, s2
	v_dual_cndmask_b32 v15, v15, v58, s10 :: v_dual_cndmask_b32 v18, v18, v128, s10
	s_delay_alu instid0(VALU_DEP_2) | instskip(NEXT) | instid1(VALU_DEP_4)
	v_dual_cndmask_b32 v22, v22, v131, s2 :: v_dual_cndmask_b32 v19, v20, v78, s10
	v_dual_cndmask_b32 v14, v14, v53, s11 :: v_dual_cndmask_b32 v20, v24, v131, s15
	s_delay_alu instid0(VALU_DEP_3) | instskip(NEXT) | instid1(VALU_DEP_2)
	v_dual_cndmask_b32 v15, v15, v41, s11 :: v_dual_cndmask_b32 v18, v18, v126, s11
	v_dual_cndmask_b32 v19, v19, v77, s11 :: v_dual_cndmask_b32 v14, v14, v51, s12
	v_add_f64_e64 v[2:3], -v[10:11], 1.0
	s_delay_alu instid0(VALU_DEP_3) | instskip(NEXT) | instid1(VALU_DEP_3)
	v_dual_cndmask_b32 v24, v15, v34, s12 :: v_dual_cndmask_b32 v18, v18, v116, s12
	v_dual_cndmask_b32 v29, v19, v76, s12 :: v_dual_cndmask_b32 v15, v14, v31, s13
	s_delay_alu instid0(VALU_DEP_2) | instskip(NEXT) | instid1(VALU_DEP_2)
	v_cndmask_b32_e64 v14, v24, v30, s13
	v_dual_cndmask_b32 v19, v18, v114, s13 :: v_dual_cndmask_b32 v18, v29, v75, s13
	v_dual_cndmask_b32 v24, v26, v47, s3 :: v_dual_cndmask_b32 v26, v27, v60, s3
	v_cndmask_b32_e64 v27, v28, v135, s3
	s_delay_alu instid0(VALU_DEP_3) | instskip(SKIP_4) | instid1(VALU_DEP_3)
	v_mul_f64_e32 v[44:45], v[18:19], v[2:3]
	v_mul_f64_e32 v[42:43], v[14:15], v[2:3]
	v_dual_cndmask_b32 v14, v21, v79, s3 :: v_dual_cndmask_b32 v15, v20, v133, s9
	v_dual_cndmask_b32 v18, v25, v132, s9 :: v_dual_cndmask_b32 v19, v24, v55, s4
	;; [unrolled: 1-line block ×3, first 2 shown]
	v_cndmask_b32_e64 v14, v14, v78, s4
	s_delay_alu instid0(VALU_DEP_3) | instskip(NEXT) | instid1(VALU_DEP_4)
	v_dual_cndmask_b32 v15, v15, v142, s10 :: v_dual_cndmask_b32 v18, v18, v56, s10
	v_cndmask_b32_e64 v19, v19, v53, s5
	s_delay_alu instid0(VALU_DEP_4) | instskip(NEXT) | instid1(VALU_DEP_3)
	v_dual_cndmask_b32 v20, v20, v41, s5 :: v_dual_cndmask_b32 v21, v21, v126, s5
	v_dual_cndmask_b32 v15, v15, v32, s11 :: v_dual_cndmask_b32 v14, v14, v77, s5
	s_delay_alu instid0(VALU_DEP_3) | instskip(NEXT) | instid1(VALU_DEP_3)
	v_dual_cndmask_b32 v18, v18, v54, s11 :: v_dual_cndmask_b32 v19, v19, v51, s6
	v_dual_cndmask_b32 v20, v20, v34, s6 :: v_dual_cndmask_b32 v21, v21, v116, s6
	s_delay_alu instid0(VALU_DEP_3) | instskip(NEXT) | instid1(VALU_DEP_3)
	v_dual_cndmask_b32 v25, v14, v76, s6 :: v_dual_cndmask_b32 v24, v15, v63, s12
	v_dual_cndmask_b32 v18, v18, v52, s12 :: v_dual_cndmask_b32 v15, v19, v31, s7
	s_delay_alu instid0(VALU_DEP_2) | instskip(NEXT) | instid1(VALU_DEP_3)
	v_dual_cndmask_b32 v14, v20, v30, s7 :: v_dual_cndmask_b32 v20, v25, v75, s7
	v_dual_cndmask_b32 v21, v21, v114, s7 :: v_dual_cndmask_b32 v19, v24, v61, s13
	s_delay_alu instid0(VALU_DEP_3) | instskip(SKIP_1) | instid1(VALU_DEP_3)
	v_cndmask_b32_e64 v18, v18, v50, s13
	v_dual_mul_f64 v[64:65], v[12:13], v[2:3] :: v_dual_cndmask_b32 v12, v22, v133, s3
	v_fmac_f64_e32 v[44:45], v[20:21], v[10:11]
	s_delay_alu instid0(VALU_DEP_3)
	v_mul_f64_e32 v[66:67], v[18:19], v[2:3]
	v_lshl_add_u32 v3, v35, 2, v134
	v_fmac_f64_e32 v[42:43], v[14:15], v[10:11]
	ds_load_b32 v36, v3 offset:40
	s_wait_dscnt 0x0
	v_cmp_eq_u32_e32 vcc_lo, 8, v36
	v_cndmask_b32_e64 v2, v23, v130, s2
	v_cmp_eq_u32_e64 s2, 7, v36
	v_cmp_eq_u32_e64 s8, 1, v36
	;; [unrolled: 1-line block ×3, first 2 shown]
	v_cndmask_b32_e32 v29, v114, v45, vcc_lo
	v_dual_cndmask_b32 v2, v2, v132, s3 :: v_dual_cndmask_b32 v3, v12, v142, s4
	v_fmac_f64_e32 v[64:65], v[16:17], v[10:11]
	v_cndmask_b32_e64 v27, v116, v45, s2
	v_cmp_eq_u32_e64 s3, 6, v36
	s_delay_alu instid0(VALU_DEP_4) | instskip(SKIP_3) | instid1(VALU_DEP_3)
	v_cndmask_b32_e64 v2, v2, v56, s4
	v_cndmask_b32_e64 v3, v3, v32, s5
	v_cmp_eq_u32_e64 s4, 5, v36
	v_dual_cndmask_b32 v31, v31, v43, vcc_lo :: v_dual_cndmask_b32 v26, v76, v44, s2
	v_dual_cndmask_b32 v2, v2, v54, s5 :: v_dual_cndmask_b32 v3, v3, v63, s6
	v_cmp_eq_u32_e64 s5, 4, v36
	v_dual_cndmask_b32 v28, v75, v44, vcc_lo :: v_dual_cndmask_b32 v53, v53, v43, s3
	s_delay_alu instid0(VALU_DEP_3) | instskip(SKIP_2) | instid1(VALU_DEP_3)
	v_dual_cndmask_b32 v2, v2, v52, s6 :: v_dual_cndmask_b32 v3, v3, v61, s7
	v_cmp_eq_u32_e64 s6, 3, v36
	v_dual_cndmask_b32 v51, v51, v43, s2 :: v_dual_cndmask_b32 v25, v126, v45, s3
	v_cndmask_b32_e64 v2, v2, v50, s7
	v_cmp_eq_u32_e64 s7, 2, v36
	v_dual_cndmask_b32 v24, v77, v44, s3 :: v_dual_cndmask_b32 v55, v55, v43, s4
	v_dual_cndmask_b32 v23, v128, v45, s4 :: v_dual_cndmask_b32 v22, v78, v44, s4
	s_delay_alu instid0(VALU_DEP_4)
	v_fmac_f64_e32 v[66:67], v[2:3], v[10:11]
	v_lshl_add_u32 v2, v36, 2, v134
	v_dual_cndmask_b32 v129, v47, v43, s5 :: v_dual_cndmask_b32 v127, v124, v43, s6
	v_dual_cndmask_b32 v21, v135, v45, s5 :: v_dual_cndmask_b32 v19, v136, v45, s6
	ds_load_b32 v2, v2 offset:40
	v_dual_cndmask_b32 v20, v79, v44, s5 :: v_dual_cndmask_b32 v18, v80, v44, s6
	v_dual_cndmask_b32 v113, v113, v43, s7 :: v_dual_cndmask_b32 v115, v115, v43, s8
	v_dual_cndmask_b32 v17, v137, v45, s7 :: v_dual_cndmask_b32 v15, v138, v45, s8
	v_dual_cndmask_b32 v16, v81, v44, s7 :: v_dual_cndmask_b32 v14, v112, v44, s8
	v_dual_cndmask_b32 v117, v117, v43, s9 :: v_dual_cndmask_b32 v13, v71, v45, s9
	v_dual_cndmask_b32 v12, v70, v44, s9 :: v_dual_cndmask_b32 v128, v60, v42, s5
	v_dual_cndmask_b32 v126, v62, v42, s6 :: v_dual_cndmask_b32 v112, v72, v42, s7
	v_dual_cndmask_b32 v114, v73, v42, s8 :: v_dual_cndmask_b32 v116, v74, v42, s9
	v_dual_cndmask_b32 v125, v122, v65, s5 :: v_dual_cndmask_b32 v124, v68, v64, s5
	v_dual_cndmask_b32 v123, v123, v65, s6 :: v_dual_cndmask_b32 v122, v69, v64, s6
	s_wait_dscnt 0x0
	scratch_store_b32 off, v2, off offset:4
	v_dual_cndmask_b32 v107, v107, v65, s7 :: v_dual_cndmask_b32 v106, v106, v64, s7
	v_dual_cndmask_b32 v109, v109, v65, s8 :: v_dual_cndmask_b32 v108, v108, v64, s8
	;; [unrolled: 1-line block ×5, first 2 shown]
	s_wait_xcnt 0x0
	v_dual_cndmask_b32 v3, v143, v67, s7 :: v_dual_cndmask_b32 v2, v141, v66, s7
	v_dual_cndmask_b32 v119, v119, v67, s8 :: v_dual_cndmask_b32 v118, v118, v66, s8
	;; [unrolled: 1-line block ×3, first 2 shown]
	v_dual_cndmask_b32 v30, v30, v42, vcc_lo :: v_dual_cndmask_b32 v60, v41, v42, s3
	v_dual_cndmask_b32 v62, v34, v42, s2 :: v_dual_cndmask_b32 v57, v57, v65, vcc_lo
	v_dual_cndmask_b32 v58, v58, v42, s4 :: v_dual_cndmask_b32 v44, v37, v64, vcc_lo
	v_dual_cndmask_b32 v59, v59, v65, s2 :: v_dual_cndmask_b32 v46, v46, v64, s2
	v_dual_cndmask_b32 v49, v49, v65, s3 :: v_dual_cndmask_b32 v48, v48, v64, s3
	;; [unrolled: 1-line block ×3, first 2 shown]
	v_dual_cndmask_b32 v61, v61, v67 :: v_dual_cndmask_b32 v50, v50, v66
	v_dual_cndmask_b32 v63, v63, v67, s2 :: v_dual_cndmask_b32 v52, v52, v66, s2
	v_dual_cndmask_b32 v47, v32, v67, s3 :: v_dual_cndmask_b32 v54, v54, v66, s3
	;; [unrolled: 1-line block ×3, first 2 shown]
.LBB2_60:
	s_or_b32 exec_lo, exec_lo, s30
	scratch_store_b32 off, v33, off
	s_wait_xcnt 0x0
	s_and_saveexec_b32 s3, s0
	s_cbranch_execz .LBB2_69
; %bb.61:
	s_mov_b32 s4, 0
	s_branch .LBB2_63
.LBB2_62:                               ;   in Loop: Header=BB2_63 Depth=1
	s_wait_xcnt 0x0
	s_or_b32 exec_lo, exec_lo, s5
	s_wait_dscnt 0x0
	v_cmp_gt_i32_e32 vcc_lo, 0, v32
	v_mov_b32_e32 v38, v32
	s_or_b32 s4, vcc_lo, s4
	s_delay_alu instid0(SALU_CYCLE_1)
	s_and_not1_b32 exec_lo, exec_lo, s4
	s_cbranch_execz .LBB2_69
.LBB2_63:                               ; =>This Inner Loop Header: Depth=1
	s_delay_alu instid0(VALU_DEP_1) | instskip(SKIP_3) | instid1(VALU_DEP_2)
	v_cmp_eq_u32_e32 vcc_lo, 1, v38
	v_cmp_eq_u32_e64 s2, 2, v38
	v_dual_cndmask_b32 v32, v111, v109 :: v_dual_cndmask_b32 v33, v110, v108
	v_cmp_eq_u32_e32 vcc_lo, 3, v38
	v_dual_cndmask_b32 v32, v32, v107, s2 :: v_dual_cndmask_b32 v33, v33, v106, s2
	s_mov_b32 s2, 0
	s_delay_alu instid0(VALU_DEP_1) | instskip(SKIP_1) | instid1(VALU_DEP_2)
	v_dual_cndmask_b32 v32, v32, v123 :: v_dual_cndmask_b32 v33, v33, v122
	v_cmp_eq_u32_e32 vcc_lo, 4, v38
	v_dual_cndmask_b32 v32, v32, v125 :: v_dual_cndmask_b32 v33, v33, v124
	v_cmp_eq_u32_e32 vcc_lo, 5, v38
	s_delay_alu instid0(VALU_DEP_2) | instskip(SKIP_1) | instid1(VALU_DEP_2)
	v_dual_cndmask_b32 v32, v32, v45 :: v_dual_cndmask_b32 v33, v33, v10
	v_cmp_eq_u32_e32 vcc_lo, 6, v38
	v_dual_cndmask_b32 v32, v32, v49 :: v_dual_cndmask_b32 v33, v33, v48
	v_cmp_eq_u32_e32 vcc_lo, 7, v38
	s_delay_alu instid0(VALU_DEP_2) | instskip(SKIP_1) | instid1(VALU_DEP_2)
	v_dual_cndmask_b32 v32, v32, v59, vcc_lo :: v_dual_cndmask_b32 v34, v33, v46, vcc_lo
	v_cmp_eq_u32_e32 vcc_lo, 8, v38
	v_dual_cndmask_b32 v33, v32, v57 :: v_dual_cndmask_b32 v32, v34, v44
	s_delay_alu instid0(VALU_DEP_1) | instskip(SKIP_3) | instid1(SALU_CYCLE_1)
	v_cmp_ngt_f64_e32 vcc_lo, 0, v[32:33]
	v_lshl_add_u32 v33, v38, 2, v134
	ds_load_b32 v32, v33 offset:40
	s_and_saveexec_b32 s5, vcc_lo
	s_xor_b32 s5, exec_lo, s5
	s_cbranch_execnz .LBB2_66
; %bb.64:                               ;   in Loop: Header=BB2_63 Depth=1
	s_or_saveexec_b32 s5, s5
	v_mov_b32_e32 v34, 0
	s_xor_b32 exec_lo, exec_lo, s5
	s_cbranch_execnz .LBB2_67
.LBB2_65:                               ;   in Loop: Header=BB2_63 Depth=1
	s_or_b32 exec_lo, exec_lo, s5
	s_and_saveexec_b32 s5, s2
	s_cbranch_execz .LBB2_62
	s_branch .LBB2_68
.LBB2_66:                               ;   in Loop: Header=BB2_63 Depth=1
	scratch_load_b32 v33, off, off
	s_wait_loadcnt 0x0
	v_cmp_eq_u32_e32 vcc_lo, -1, v33
                                        ; implicit-def: $vgpr33
	s_and_b32 s2, vcc_lo, exec_lo
	s_wait_xcnt 0x0
	s_or_saveexec_b32 s5, s5
	v_mov_b32_e32 v34, 0
	s_xor_b32 exec_lo, exec_lo, s5
	s_cbranch_execz .LBB2_65
.LBB2_67:                               ;   in Loop: Header=BB2_63 Depth=1
	scratch_load_b32 v37, off, off offset:4
	v_mov_b32_e32 v34, 4
	s_or_b32 s2, s2, exec_lo
	s_wait_loadcnt 0x0
	ds_store_b32 v33, v37 offset:40
	s_wait_xcnt 0x0
	s_or_b32 exec_lo, exec_lo, s5
	s_and_saveexec_b32 s5, s2
	s_cbranch_execz .LBB2_62
.LBB2_68:                               ;   in Loop: Header=BB2_63 Depth=1
	scratch_store_b32 v34, v38, off
	s_branch .LBB2_62
.LBB2_69:
	s_or_b32 exec_lo, exec_lo, s3
	s_and_saveexec_b32 s2, s1
	s_cbranch_execz .LBB2_71
; %bb.70:
	v_cmp_gt_f64_e32 vcc_lo, 0, v[0:1]
	v_lshl_add_u32 v32, v39, 2, v134
	v_lshl_add_u32 v1, v35, 2, v134
	;; [unrolled: 1-line block ×3, first 2 shown]
	s_and_b32 s0, s0, vcc_lo
	s_delay_alu instid0(SALU_CYCLE_1) | instskip(NEXT) | instid1(SALU_CYCLE_1)
	s_or_b32 s0, s27, s0
	v_cndmask_b32_e64 v33, v40, -1, s0
	ds_store_b32 v32, v35 offset:40
	ds_store_b32 v1, v36 offset:40
	;; [unrolled: 1-line block ×3, first 2 shown]
.LBB2_71:
	s_or_b32 exec_lo, exec_lo, s2
	ds_load_2addr_b64 v[32:35], v134 offset0:5 offset1:6
	ds_load_2addr_b64 v[36:39], v134 offset0:7 offset1:8
	s_mov_b32 s27, 0
	s_wait_dscnt 0x1
	ds_store_b128 v134, v[32:35]
	s_wait_dscnt 0x1
	ds_store_b128 v134, v[36:39] offset:16
	s_clause 0x1
	scratch_load_b32 v135, off, off
	scratch_load_b32 v136, off, off offset:4
	ds_load_b32 v0, v134 offset:72
	v_mov_b64_e32 v[34:35], -1
	v_dual_mov_b32 v38, -1 :: v_dual_mov_b32 v39, -1
	s_wait_dscnt 0x0
	ds_store_b32 v134, v0 offset:32
	s_wait_loadcnt 0x1
	v_cmp_eq_u32_e32 vcc_lo, 1, v135
	v_cmp_eq_u32_e64 s0, 2, v135
	scratch_store_b32 off, v135, off offset:8
	s_wait_loadcnt 0x0
	scratch_store_b32 off, v136, off offset:12
	v_dual_cndmask_b32 v0, v121, v119 :: v_dual_cndmask_b32 v1, v120, v118
	v_cmp_eq_u32_e32 vcc_lo, 3, v135
	s_delay_alu instid0(VALU_DEP_2) | instskip(SKIP_1) | instid1(VALU_DEP_2)
	v_dual_cndmask_b32 v0, v0, v3, s0 :: v_dual_cndmask_b32 v1, v1, v2, s0
	v_cmp_lt_i32_e64 s0, -1, v135
	v_dual_cndmask_b32 v0, v0, v131 :: v_dual_cndmask_b32 v1, v1, v130
	v_cmp_eq_u32_e32 vcc_lo, 4, v135
	s_delay_alu instid0(VALU_DEP_2) | instskip(SKIP_1) | instid1(VALU_DEP_2)
	v_dual_cndmask_b32 v0, v0, v133 :: v_dual_cndmask_b32 v1, v1, v132
	v_cmp_eq_u32_e32 vcc_lo, 5, v135
	v_dual_cndmask_b32 v0, v0, v11 :: v_dual_cndmask_b32 v1, v1, v56
	v_cmp_eq_u32_e32 vcc_lo, 6, v135
	s_delay_alu instid0(VALU_DEP_2) | instskip(SKIP_1) | instid1(VALU_DEP_2)
	v_dual_cndmask_b32 v0, v0, v47 :: v_dual_cndmask_b32 v1, v1, v54
	v_cmp_eq_u32_e32 vcc_lo, 7, v135
	v_dual_cndmask_b32 v0, v0, v63, vcc_lo :: v_dual_cndmask_b32 v32, v1, v52, vcc_lo
	v_cmp_eq_u32_e32 vcc_lo, 8, v135
	s_delay_alu instid0(VALU_DEP_2) | instskip(NEXT) | instid1(VALU_DEP_3)
	v_cndmask_b32_e32 v1, v0, v61, vcc_lo
	v_cndmask_b32_e32 v0, v32, v50, vcc_lo
	v_mov_b64_e32 v[32:33], -1
	s_wait_xcnt 0x0
	s_and_saveexec_b32 s5, s0
	s_cbranch_execz .LBB2_75
; %bb.72:
	v_mov_b64_e32 v[36:37], v[0:1]
	v_dual_mov_b32 v38, -1 :: v_dual_mov_b32 v33, v135
	v_dual_mov_b32 v32, -1 :: v_dual_mov_b32 v34, -1
	v_mov_b32_e32 v39, -1
	s_mov_b32 s6, 0
                                        ; implicit-def: $sgpr7
.LBB2_73:                               ; =>This Inner Loop Header: Depth=1
	s_delay_alu instid0(VALU_DEP_3)
	v_lshl_add_u32 v35, v33, 2, v134
	v_cmp_le_f64_e32 vcc_lo, 0, v[36:37]
	v_cmp_gt_f64_e64 s1, 0, v[36:37]
	ds_load_b32 v35, v35 offset:40
	s_wait_dscnt 0x0
	v_cmp_gt_i32_e64 s2, 0, v35
	s_delay_alu instid0(VALU_DEP_1) | instskip(NEXT) | instid1(VALU_DEP_1)
	v_cndmask_b32_e64 v40, v35, v135, s2
	v_cmp_eq_u32_e64 s3, 1, v40
	s_delay_alu instid0(VALU_DEP_1) | instskip(SKIP_2) | instid1(VALU_DEP_2)
	v_dual_cndmask_b32 v37, v120, v118, s3 :: v_dual_cndmask_b32 v36, v121, v119, s3
	v_cmp_eq_u32_e64 s4, 2, v40
	v_cmp_eq_u32_e64 s3, 3, v40
	v_dual_cndmask_b32 v36, v36, v3, s4 :: v_dual_cndmask_b32 v37, v37, v2, s4
	s_delay_alu instid0(VALU_DEP_1) | instskip(SKIP_1) | instid1(VALU_DEP_1)
	v_dual_cndmask_b32 v36, v36, v131, s3 :: v_dual_cndmask_b32 v37, v37, v130, s3
	v_cmp_eq_u32_e64 s3, 4, v40
	v_dual_cndmask_b32 v36, v36, v133, s3 :: v_dual_cndmask_b32 v37, v37, v132, s3
	v_cmp_eq_u32_e64 s3, 5, v40
	s_delay_alu instid0(VALU_DEP_1) | instskip(SKIP_1) | instid1(VALU_DEP_1)
	v_dual_cndmask_b32 v36, v36, v11, s3 :: v_dual_cndmask_b32 v37, v37, v56, s3
	v_cmp_eq_u32_e64 s3, 6, v40
	v_dual_cndmask_b32 v36, v36, v47, s3 :: v_dual_cndmask_b32 v37, v37, v54, s3
	v_cmp_eq_u32_e64 s3, 7, v40
	s_delay_alu instid0(VALU_DEP_1) | instskip(SKIP_1) | instid1(VALU_DEP_1)
	v_dual_cndmask_b32 v36, v36, v63, s3 :: v_dual_cndmask_b32 v41, v37, v52, s3
	v_cmp_eq_u32_e64 s3, 8, v40
	v_dual_cndmask_b32 v37, v36, v61, s3 :: v_dual_cndmask_b32 v36, v41, v50, s3
	s_delay_alu instid0(VALU_DEP_1) | instskip(SKIP_3) | instid1(SALU_CYCLE_1)
	v_cmp_gt_f64_e64 s3, 0, v[36:37]
	v_cmp_le_f64_e64 s4, 0, v[36:37]
	s_and_b32 vcc_lo, vcc_lo, s3
	s_and_b32 s3, s1, s4
	v_dual_cndmask_b32 v34, v34, v40, vcc_lo :: v_dual_cndmask_b32 v39, v39, v40, s3
	v_dual_cndmask_b32 v38, v38, v33, vcc_lo :: v_dual_cndmask_b32 v32, v32, v33, s3
	v_mov_b32_e32 v33, v35
	s_or_b32 s6, s2, s6
	s_and_not1_b32 s2, s7, exec_lo
	s_and_b32 s1, s1, exec_lo
	s_delay_alu instid0(SALU_CYCLE_1)
	s_or_b32 s7, s2, s1
	s_and_not1_b32 exec_lo, exec_lo, s6
	s_cbranch_execnz .LBB2_73
; %bb.74:
	s_or_b32 exec_lo, exec_lo, s6
	s_delay_alu instid0(SALU_CYCLE_1)
	s_and_b32 s27, s7, exec_lo
.LBB2_75:
	s_or_b32 exec_lo, exec_lo, s5
	v_dual_mov_b32 v33, -1 :: v_dual_mov_b32 v36, -1
	v_cmp_lt_i32_e64 s1, -1, v38
	v_lshl_add_u32 v137, v136, 2, v134
	v_mov_b32_e32 v35, -1
	s_and_saveexec_b32 s30, s1
	s_cbranch_execz .LBB2_77
; %bb.76:
	v_cmp_eq_u32_e64 s2, 1, v34
	v_cmp_eq_u32_e64 s11, 1, v38
	;; [unrolled: 1-line block ×5, first 2 shown]
	v_cndmask_b32_e64 v35, v121, v119, s2
	v_cmp_eq_u32_e64 s6, 5, v34
	v_cmp_eq_u32_e64 s7, 6, v34
	;; [unrolled: 1-line block ×4, first 2 shown]
	v_dual_cndmask_b32 v34, v120, v118, s2 :: v_dual_cndmask_b32 v36, v121, v119, s11
	v_cndmask_b32_e64 v37, v120, v118, s11
	v_cmp_eq_u32_e64 s12, 2, v38
	s_delay_alu instid0(VALU_DEP_3) | instskip(SKIP_2) | instid1(VALU_DEP_4)
	v_dual_cndmask_b32 v35, v35, v3, s3 :: v_dual_cndmask_b32 v34, v34, v2, s3
	v_cmp_eq_u32_e64 s13, 3, v38
	v_cmp_eq_u32_e64 s14, 4, v38
	v_dual_cndmask_b32 v36, v36, v3, s12 :: v_dual_cndmask_b32 v37, v37, v2, s12
	s_delay_alu instid0(VALU_DEP_4) | instskip(SKIP_1) | instid1(VALU_DEP_3)
	v_dual_cndmask_b32 v35, v35, v131, s4 :: v_dual_cndmask_b32 v34, v34, v130, s4
	v_cmp_eq_u32_e64 s15, 5, v38
	v_dual_cndmask_b32 v36, v36, v131, s13 :: v_dual_cndmask_b32 v37, v37, v130, s13
	s_delay_alu instid0(VALU_DEP_3) | instskip(SKIP_1) | instid1(VALU_DEP_3)
	v_dual_cndmask_b32 v35, v35, v133, s5 :: v_dual_cndmask_b32 v34, v34, v132, s5
	v_cmp_eq_u32_e64 s16, 6, v38
	v_dual_cndmask_b32 v36, v36, v133, s14 :: v_dual_cndmask_b32 v37, v37, v132, s14
	s_delay_alu instid0(VALU_DEP_3) | instskip(SKIP_1) | instid1(VALU_DEP_3)
	;; [unrolled: 4-line block ×5, first 2 shown]
	v_dual_cndmask_b32 v35, v35, v61, s10 :: v_dual_cndmask_b32 v34, v34, v50, s10
	v_cmp_eq_u32_e64 s8, 5, v136
	v_cndmask_b32_e64 v37, v36, v61, s18
	s_delay_alu instid0(VALU_DEP_4)
	v_cndmask_b32_e64 v36, v40, v50, s18
	v_cmp_eq_u32_e64 s23, 4, v136
	v_add_f64_e64 v[40:41], -v[34:35], 0
	v_cmp_eq_u32_e64 s19, 3, v136
	v_cmp_eq_u32_e64 s21, 1, v136
	v_add_f64_e64 v[42:43], v[36:37], -v[34:35]
	v_cmp_eq_u32_e64 s22, 0, v136
	v_cmp_eq_u32_e64 s25, 7, v136
	;; [unrolled: 1-line block ×3, first 2 shown]
	s_delay_alu instid0(VALU_DEP_4) | instskip(NEXT) | instid1(VALU_DEP_1)
	v_div_scale_f64 v[64:65], null, v[42:43], v[42:43], v[40:41]
	v_rcp_f64_e32 v[66:67], v[64:65]
	v_nop
	s_delay_alu instid0(TRANS32_DEP_1) | instskip(NEXT) | instid1(VALU_DEP_1)
	v_fma_f64 v[68:69], -v[64:65], v[66:67], 1.0
	v_fmac_f64_e32 v[66:67], v[66:67], v[68:69]
	s_delay_alu instid0(VALU_DEP_1) | instskip(NEXT) | instid1(VALU_DEP_1)
	v_fma_f64 v[68:69], -v[64:65], v[66:67], 1.0
	v_fmac_f64_e32 v[66:67], v[66:67], v[68:69]
	v_div_scale_f64 v[68:69], vcc_lo, v[40:41], v[42:43], v[40:41]
	s_delay_alu instid0(VALU_DEP_1) | instskip(NEXT) | instid1(VALU_DEP_1)
	v_mul_f64_e32 v[70:71], v[68:69], v[66:67]
	v_fma_f64 v[64:65], -v[64:65], v[70:71], v[68:69]
	v_cndmask_b32_e64 v69, v12, v14, s11
	s_delay_alu instid0(VALU_DEP_2) | instskip(SKIP_1) | instid1(VALU_DEP_2)
	v_div_fmas_f64 v[64:65], v[64:65], v[66:67], v[70:71]
	v_cmp_eq_u32_e32 vcc_lo, 6, v136
	v_div_fixup_f64 v[40:41], v[64:65], v[42:43], v[40:41]
	v_dual_cndmask_b32 v42, v117, v115, s11 :: v_dual_cndmask_b32 v65, v116, v114, s2
	s_delay_alu instid0(VALU_DEP_1) | instskip(NEXT) | instid1(VALU_DEP_1)
	v_dual_cndmask_b32 v42, v42, v113, s12 :: v_dual_cndmask_b32 v43, v116, v114, s11
	v_dual_cndmask_b32 v65, v65, v112, s3 :: v_dual_cndmask_b32 v42, v42, v127, s13
	s_delay_alu instid0(VALU_DEP_1) | instskip(NEXT) | instid1(VALU_DEP_1)
	v_dual_cndmask_b32 v43, v43, v112, s12 :: v_dual_cndmask_b32 v65, v65, v126, s4
	v_dual_cndmask_b32 v42, v42, v129, s14 :: v_dual_cndmask_b32 v43, v43, v126, s13
	s_delay_alu instid0(VALU_DEP_1) | instskip(NEXT) | instid1(VALU_DEP_1)
	v_dual_cndmask_b32 v65, v65, v128, s5 :: v_dual_cndmask_b32 v42, v42, v55, s15
	v_dual_cndmask_b32 v43, v43, v128, s14 :: v_dual_cndmask_b32 v65, v65, v58, s6
	s_delay_alu instid0(VALU_DEP_1) | instskip(NEXT) | instid1(VALU_DEP_1)
	v_dual_cndmask_b32 v42, v42, v53, s16 :: v_dual_cndmask_b32 v43, v43, v58, s15
	v_dual_cndmask_b32 v65, v65, v60, s7 :: v_dual_cndmask_b32 v42, v42, v51, s17
	s_delay_alu instid0(VALU_DEP_1) | instskip(NEXT) | instid1(VALU_DEP_1)
	v_dual_cndmask_b32 v43, v43, v60, s16 :: v_dual_cndmask_b32 v66, v65, v62, s9
	v_dual_cndmask_b32 v64, v43, v62, s17 :: v_dual_cndmask_b32 v43, v42, v31, s18
	s_delay_alu instid0(VALU_DEP_1) | instskip(NEXT) | instid1(VALU_DEP_1)
	v_dual_cndmask_b32 v42, v64, v30, s18 :: v_dual_cndmask_b32 v64, v117, v115, s2
	v_cndmask_b32_e64 v64, v64, v113, s3
	s_delay_alu instid0(VALU_DEP_1) | instskip(NEXT) | instid1(VALU_DEP_1)
	v_cndmask_b32_e64 v64, v64, v127, s4
	v_cndmask_b32_e64 v64, v64, v129, s5
	s_delay_alu instid0(VALU_DEP_1) | instskip(NEXT) | instid1(VALU_DEP_1)
	v_cndmask_b32_e64 v64, v64, v55, s6
	;; [unrolled: 3-line block ×3, first 2 shown]
	v_dual_cndmask_b32 v65, v64, v31, s10 :: v_dual_cndmask_b32 v64, v66, v30, s10
	v_add_f64_e64 v[66:67], -v[40:41], 1.0
	s_delay_alu instid0(VALU_DEP_1) | instskip(NEXT) | instid1(VALU_DEP_1)
	v_mul_f64_e32 v[64:65], v[64:65], v[66:67]
	v_fmac_f64_e32 v[64:65], v[42:43], v[40:41]
	v_cndmask_b32_e64 v42, v13, v15, s2
	s_delay_alu instid0(VALU_DEP_1) | instskip(NEXT) | instid1(VALU_DEP_1)
	v_dual_cndmask_b32 v42, v42, v17, s3 :: v_dual_cndmask_b32 v43, v12, v14, s2
	v_dual_cndmask_b32 v42, v42, v19, s4 :: v_dual_cndmask_b32 v43, v43, v16, s3
	s_delay_alu instid0(VALU_DEP_1) | instskip(NEXT) | instid1(VALU_DEP_1)
	v_dual_cndmask_b32 v42, v42, v21, s5 :: v_dual_cndmask_b32 v43, v43, v18, s4
	v_dual_cndmask_b32 v42, v42, v23, s6 :: v_dual_cndmask_b32 v43, v43, v20, s5
	s_delay_alu instid0(VALU_DEP_1) | instskip(NEXT) | instid1(VALU_DEP_1)
	v_dual_cndmask_b32 v42, v42, v25, s7 :: v_dual_cndmask_b32 v43, v43, v22, s6
	v_cndmask_b32_e64 v42, v42, v27, s9
	v_cndmask_b32_e64 v58, v58, v64, s8
	s_delay_alu instid0(VALU_DEP_3)
	v_cndmask_b32_e64 v43, v43, v24, s7
	v_dual_cndmask_b32 v55, v55, v65, s8 :: v_dual_cndmask_b32 v71, v114, v64, s21
	v_dual_cndmask_b32 v72, v116, v64, s22 :: v_dual_cndmask_b32 v62, v62, v64, s25
	v_dual_cndmask_b32 v60, v60, v64, vcc_lo :: v_dual_cndmask_b32 v31, v31, v65, s24
	v_dual_cndmask_b32 v53, v53, v65, vcc_lo :: v_dual_cndmask_b32 v127, v127, v65, s19
	v_dual_cndmask_b32 v117, v117, v65, s22 :: v_dual_cndmask_b32 v30, v30, v64, s24
	v_dual_cndmask_b32 v68, v43, v26, s9 :: v_dual_cndmask_b32 v43, v42, v29, s10
	s_delay_alu instid0(VALU_DEP_1) | instskip(SKIP_1) | instid1(VALU_DEP_1)
	v_dual_cndmask_b32 v113, v113, v65, s20 :: v_dual_cndmask_b32 v42, v68, v28, s10
	v_cndmask_b32_e64 v68, v13, v15, s11
	v_dual_cndmask_b32 v68, v68, v17, s12 :: v_dual_cndmask_b32 v69, v69, v16, s12
	s_delay_alu instid0(VALU_DEP_3) | instskip(NEXT) | instid1(VALU_DEP_2)
	v_mul_f64_e32 v[42:43], v[42:43], v[66:67]
	v_dual_cndmask_b32 v68, v68, v19, s13 :: v_dual_cndmask_b32 v69, v69, v18, s13
	s_delay_alu instid0(VALU_DEP_1) | instskip(NEXT) | instid1(VALU_DEP_1)
	v_dual_cndmask_b32 v68, v68, v21, s14 :: v_dual_cndmask_b32 v69, v69, v20, s14
	v_dual_cndmask_b32 v68, v68, v23, s15 :: v_dual_cndmask_b32 v69, v69, v22, s15
	s_delay_alu instid0(VALU_DEP_1) | instskip(NEXT) | instid1(VALU_DEP_1)
	v_dual_cndmask_b32 v68, v68, v25, s16 :: v_dual_cndmask_b32 v69, v69, v24, s16
	v_dual_cndmask_b32 v68, v68, v27, s17 :: v_dual_cndmask_b32 v70, v69, v26, s17
	s_delay_alu instid0(VALU_DEP_1) | instskip(SKIP_1) | instid1(VALU_DEP_2)
	v_dual_cndmask_b32 v69, v68, v29, s18 :: v_dual_cndmask_b32 v68, v70, v28, s18
	v_cndmask_b32_e64 v70, v112, v64, s20
	v_fmac_f64_e32 v[42:43], v[68:69], v[40:41]
	v_dual_cndmask_b32 v68, v128, v64, s23 :: v_dual_cndmask_b32 v69, v126, v64, s19
	s_delay_alu instid0(VALU_DEP_2) | instskip(SKIP_3) | instid1(VALU_DEP_2)
	v_dual_cndmask_b32 v79, v12, v42, s22 :: v_dual_cndmask_b32 v29, v29, v43, s24
	v_dual_cndmask_b32 v126, v15, v43, s21 :: v_dual_cndmask_b32 v128, v13, v43, s22
	v_dual_cndmask_b32 v13, v110, v108, s2 :: v_dual_cndmask_b32 v12, v111, v109, s2
	v_dual_cndmask_b32 v77, v16, v42, s20 :: v_dual_cndmask_b32 v78, v14, v42, s21
	v_dual_cndmask_b32 v15, v110, v108, s11 :: v_dual_cndmask_b32 v13, v13, v106, s3
	s_delay_alu instid0(VALU_DEP_3) | instskip(SKIP_1) | instid1(VALU_DEP_3)
	v_dual_cndmask_b32 v51, v51, v65, s25 :: v_dual_cndmask_b32 v12, v12, v107, s3
	v_cmp_eq_u32_e64 s2, 3, v39
	v_cndmask_b32_e64 v15, v15, v106, s12
	s_delay_alu instid0(VALU_DEP_4) | instskip(SKIP_3) | instid1(VALU_DEP_4)
	v_cndmask_b32_e64 v13, v13, v122, s4
	v_cmp_eq_u32_e64 s3, 4, v39
	v_cndmask_b32_e64 v12, v12, v123, s4
	v_cmp_eq_u32_e64 s4, 5, v39
	v_dual_cndmask_b32 v15, v15, v122, s13 :: v_dual_cndmask_b32 v13, v13, v124, s5
	v_dual_cndmask_b32 v114, v19, v43, s19 :: v_dual_cndmask_b32 v116, v17, v43, s20
	s_delay_alu instid0(VALU_DEP_2) | instskip(NEXT) | instid1(VALU_DEP_3)
	v_dual_cndmask_b32 v12, v12, v125, s5 :: v_dual_cndmask_b32 v15, v15, v124, s14
	v_cndmask_b32_e64 v13, v13, v10, s6
	v_cmp_eq_u32_e64 s5, 6, v39
	v_dual_cndmask_b32 v75, v20, v42, s23 :: v_dual_cndmask_b32 v76, v18, v42, s19
	s_delay_alu instid0(VALU_DEP_3) | instskip(SKIP_3) | instid1(VALU_DEP_4)
	v_dual_cndmask_b32 v12, v12, v45, s6 :: v_dual_cndmask_b32 v13, v13, v48, s7
	v_cndmask_b32_e64 v15, v15, v10, s15
	v_cmp_eq_u32_e64 s6, 7, v39
	v_dual_cndmask_b32 v81, v23, v43, s8 :: v_dual_cndmask_b32 v112, v21, v43, s23
	v_dual_cndmask_b32 v12, v12, v49, s7 :: v_dual_cndmask_b32 v14, v13, v46, s9
	s_delay_alu instid0(VALU_DEP_4) | instskip(SKIP_2) | instid1(VALU_DEP_3)
	v_cndmask_b32_e64 v15, v15, v48, s16
	v_cmp_eq_u32_e64 s7, 8, v39
	v_dual_cndmask_b32 v73, v24, v42, vcc_lo :: v_dual_cndmask_b32 v74, v22, v42, s8
	v_dual_cndmask_b32 v12, v12, v59, s9 :: v_dual_cndmask_b32 v16, v15, v46, s17
	v_cmp_eq_u32_e64 s9, 1, v32
	v_dual_cndmask_b32 v27, v27, v43, s25 :: v_dual_cndmask_b32 v80, v25, v43, vcc_lo
	s_delay_alu instid0(VALU_DEP_3) | instskip(SKIP_4) | instid1(VALU_DEP_4)
	v_dual_cndmask_b32 v13, v12, v57, s10 :: v_dual_cndmask_b32 v12, v14, v44, s10
	v_cndmask_b32_e64 v14, v111, v109, s11
	v_cmp_eq_u32_e64 s10, 4, v32
	v_cmp_eq_u32_e64 s11, 5, v32
	v_dual_cndmask_b32 v28, v28, v42, s24 :: v_dual_cndmask_b32 v26, v26, v42, s25
	v_cndmask_b32_e64 v14, v14, v107, s12
	v_cmp_eq_u32_e64 s12, 6, v32
	s_delay_alu instid0(VALU_DEP_2) | instskip(SKIP_1) | instid1(VALU_DEP_2)
	v_cndmask_b32_e64 v14, v14, v123, s13
	v_cmp_eq_u32_e64 s13, 7, v32
	v_cndmask_b32_e64 v14, v14, v125, s14
	v_cmp_eq_u32_e64 s14, 8, v32
	s_delay_alu instid0(VALU_DEP_2) | instskip(SKIP_1) | instid1(VALU_DEP_2)
	v_cndmask_b32_e64 v14, v14, v45, s15
	v_cmp_eq_u32_e64 s15, 3, v32
	v_cndmask_b32_e64 v14, v14, v49, s16
	v_cmp_eq_u32_e64 s16, 2, v32
	v_mul_f64_e32 v[12:13], v[12:13], v[66:67]
	s_delay_alu instid0(VALU_DEP_3) | instskip(SKIP_1) | instid1(VALU_DEP_2)
	v_cndmask_b32_e64 v14, v14, v59, s17
	v_cmp_eq_u32_e64 s17, 2, v39
	v_dual_cndmask_b32 v15, v14, v57, s18 :: v_dual_cndmask_b32 v14, v16, v44, s18
	v_cmp_eq_u32_e64 s18, 1, v39
	s_delay_alu instid0(VALU_DEP_2) | instskip(SKIP_1) | instid1(VALU_DEP_2)
	v_fmac_f64_e32 v[12:13], v[14:15], v[40:41]
	v_mul_f64_e32 v[14:15], v[34:35], v[66:67]
	v_dual_cndmask_b32 v115, v115, v65, s21 :: v_dual_cndmask_b32 v124, v124, v12, s23
	s_delay_alu instid0(VALU_DEP_3) | instskip(NEXT) | instid1(VALU_DEP_3)
	v_cndmask_b32_e32 v32, v49, v13, vcc_lo
	v_fmac_f64_e32 v[14:15], v[36:37], v[40:41]
	v_dual_cndmask_b32 v48, v48, v12, vcc_lo :: v_dual_cndmask_b32 v138, v10, v12, s8
	v_dual_cndmask_b32 v49, v129, v65, s23 :: v_dual_cndmask_b32 v44, v44, v12, s24
	v_dual_cndmask_b32 v46, v46, v12, s25 :: v_dual_cndmask_b32 v57, v57, v13, s24
	;; [unrolled: 1-line block ×8, first 2 shown]
	v_cndmask_b32_e64 v13, v72, v71, s18
	s_delay_alu instid0(VALU_DEP_1) | instskip(NEXT) | instid1(VALU_DEP_1)
	v_dual_cndmask_b32 v12, v12, v113, s17 :: v_dual_cndmask_b32 v13, v13, v70, s17
	v_dual_cndmask_b32 v35, v12, v127, s2 :: v_dual_cndmask_b32 v36, v13, v69, s2
	v_dual_cndmask_b32 v118, v118, v14, s21 :: v_dual_cndmask_b32 v120, v120, v14, s22
	v_dual_cndmask_b32 v119, v119, v15, s21 :: v_dual_cndmask_b32 v121, v121, v15, s22
	v_dual_cndmask_b32 v139, v2, v14, s20 :: v_dual_cndmask_b32 v131, v131, v15, s19
	s_delay_alu instid0(VALU_DEP_3) | instskip(NEXT) | instid1(VALU_DEP_3)
	v_dual_cndmask_b32 v140, v3, v15, s20 :: v_dual_cndmask_b32 v3, v120, v118, s9
	v_dual_cndmask_b32 v2, v121, v119, s9 :: v_dual_cndmask_b32 v10, v121, v119, s18
	;; [unrolled: 1-line block ×4, first 2 shown]
	s_delay_alu instid0(VALU_DEP_3)
	v_dual_cndmask_b32 v3, v3, v139, s16 :: v_dual_cndmask_b32 v10, v10, v140, s17
	v_dual_cndmask_b32 v34, v50, v14, s24 :: v_dual_cndmask_b32 v52, v52, v14, s25
	;; [unrolled: 1-line block ×3, first 2 shown]
	v_dual_cndmask_b32 v47, v47, v15, vcc_lo :: v_dual_cndmask_b32 v61, v132, v14, s23
	v_cndmask_b32_e64 v2, v2, v140, s16
	v_cndmask_b32_e64 v10, v10, v131, s2
	v_dual_cndmask_b32 v3, v3, v67, s15 :: v_dual_cndmask_b32 v54, v54, v14, vcc_lo
	v_cndmask_b32_e64 v56, v56, v14, s8
	s_delay_alu instid0(VALU_DEP_3) | instskip(NEXT) | instid1(VALU_DEP_3)
	v_cndmask_b32_e64 v10, v10, v130, s3
	v_dual_cndmask_b32 v2, v2, v131, s15 :: v_dual_cndmask_b32 v3, v3, v61, s10
	s_delay_alu instid0(VALU_DEP_2) | instskip(NEXT) | instid1(VALU_DEP_2)
	v_dual_cndmask_b32 v11, v11, v139, s17 :: v_dual_cndmask_b32 v10, v10, v66, s4
	v_dual_cndmask_b32 v2, v2, v130, s10 :: v_dual_cndmask_b32 v3, v3, v56, s11
	s_delay_alu instid0(VALU_DEP_2) | instskip(NEXT) | instid1(VALU_DEP_3)
	v_cndmask_b32_e64 v11, v11, v67, s2
	v_cndmask_b32_e64 v10, v10, v47, s5
	s_delay_alu instid0(VALU_DEP_3) | instskip(NEXT) | instid1(VALU_DEP_4)
	v_cndmask_b32_e64 v2, v2, v66, s11
	v_cndmask_b32_e64 v3, v3, v54, s12
	s_delay_alu instid0(VALU_DEP_3) | instskip(NEXT) | instid1(VALU_DEP_2)
	v_dual_cndmask_b32 v11, v11, v61, s3 :: v_dual_cndmask_b32 v10, v10, v63, s6
	v_dual_cndmask_b32 v2, v2, v47, s12 :: v_dual_cndmask_b32 v14, v3, v52, s13
	s_delay_alu instid0(VALU_DEP_1) | instskip(NEXT) | instid1(VALU_DEP_1)
	v_dual_cndmask_b32 v11, v11, v56, s4 :: v_dual_cndmask_b32 v2, v2, v63, s13
	v_cndmask_b32_e64 v11, v11, v54, s5
	s_delay_alu instid0(VALU_DEP_1) | instskip(NEXT) | instid1(VALU_DEP_4)
	v_dual_cndmask_b32 v3, v2, v50, s14 :: v_dual_cndmask_b32 v15, v11, v52, s6
	v_cndmask_b32_e64 v2, v14, v34, s14
	v_cndmask_b32_e64 v11, v10, v50, s7
	s_delay_alu instid0(VALU_DEP_3) | instskip(NEXT) | instid1(VALU_DEP_3)
	v_cndmask_b32_e64 v10, v15, v34, s7
	v_add_f64_e64 v[14:15], -v[2:3], 0
	s_delay_alu instid0(VALU_DEP_2) | instskip(NEXT) | instid1(VALU_DEP_1)
	v_add_f64_e64 v[16:17], v[10:11], -v[2:3]
	v_div_scale_f64 v[18:19], null, v[16:17], v[16:17], v[14:15]
	v_div_scale_f64 v[24:25], vcc_lo, v[14:15], v[16:17], v[14:15]
	s_delay_alu instid0(VALU_DEP_2) | instskip(SKIP_1) | instid1(TRANS32_DEP_1)
	v_rcp_f64_e32 v[20:21], v[18:19]
	v_nop
	v_fma_f64 v[22:23], -v[18:19], v[20:21], 1.0
	s_delay_alu instid0(VALU_DEP_1) | instskip(NEXT) | instid1(VALU_DEP_1)
	v_fmac_f64_e32 v[20:21], v[20:21], v[22:23]
	v_fma_f64 v[22:23], -v[18:19], v[20:21], 1.0
	s_delay_alu instid0(VALU_DEP_1) | instskip(NEXT) | instid1(VALU_DEP_1)
	v_fmac_f64_e32 v[20:21], v[20:21], v[22:23]
	v_mul_f64_e32 v[22:23], v[24:25], v[20:21]
	s_delay_alu instid0(VALU_DEP_1) | instskip(SKIP_1) | instid1(VALU_DEP_1)
	v_fma_f64 v[18:19], -v[18:19], v[22:23], v[24:25]
	v_dual_cndmask_b32 v24, v111, v109, s9 :: v_dual_cndmask_b32 v25, v110, v108, s9
	v_dual_cndmask_b32 v24, v24, v107, s16 :: v_dual_cndmask_b32 v25, v25, v106, s16
	s_delay_alu instid0(VALU_DEP_3) | instskip(SKIP_2) | instid1(VALU_DEP_2)
	v_div_fmas_f64 v[18:19], v[18:19], v[20:21], v[22:23]
	v_dual_cndmask_b32 v20, v128, v126, s9 :: v_dual_cndmask_b32 v22, v111, v109, s18
	v_dual_cndmask_b32 v21, v79, v78, s9 :: v_dual_cndmask_b32 v23, v110, v108, s18
	;; [unrolled: 1-line block ×3, first 2 shown]
	s_delay_alu instid0(VALU_DEP_2) | instskip(NEXT) | instid1(VALU_DEP_1)
	v_dual_cndmask_b32 v21, v21, v77, s16 :: v_dual_cndmask_b32 v23, v23, v106, s17
	v_dual_cndmask_b32 v20, v20, v114, s15 :: v_dual_cndmask_b32 v21, v21, v76, s15
	v_div_fixup_f64 v[14:15], v[18:19], v[16:17], v[14:15]
	v_dual_cndmask_b32 v16, v117, v115, s9 :: v_dual_cndmask_b32 v18, v128, v126, s18
	v_dual_cndmask_b32 v17, v72, v71, s9 :: v_dual_cndmask_b32 v19, v79, v78, s18
	s_delay_alu instid0(VALU_DEP_2) | instskip(NEXT) | instid1(VALU_DEP_2)
	v_dual_cndmask_b32 v16, v16, v113, s16 :: v_dual_cndmask_b32 v18, v18, v116, s17
	v_dual_cndmask_b32 v17, v17, v70, s16 :: v_dual_cndmask_b32 v19, v19, v77, s17
	s_delay_alu instid0(VALU_DEP_1) | instskip(NEXT) | instid1(VALU_DEP_3)
	v_dual_cndmask_b32 v16, v16, v127, s15 :: v_dual_cndmask_b32 v17, v17, v69, s15
	v_dual_cndmask_b32 v37, v18, v114, s2 :: v_dual_cndmask_b32 v18, v20, v112, s10
	s_delay_alu instid0(VALU_DEP_2) | instskip(NEXT) | instid1(VALU_DEP_2)
	v_dual_cndmask_b32 v20, v21, v75, s10 :: v_dual_cndmask_b32 v16, v16, v49, s10
	v_dual_cndmask_b32 v17, v17, v68, s10 :: v_dual_cndmask_b32 v18, v18, v81, s11
	s_delay_alu instid0(VALU_DEP_2) | instskip(NEXT) | instid1(VALU_DEP_2)
	v_dual_cndmask_b32 v16, v16, v55, s11 :: v_dual_cndmask_b32 v21, v19, v76, s2
	v_cndmask_b32_e64 v17, v17, v58, s11
	s_delay_alu instid0(VALU_DEP_4) | instskip(NEXT) | instid1(VALU_DEP_3)
	v_dual_cndmask_b32 v19, v20, v74, s11 :: v_dual_cndmask_b32 v22, v22, v123, s2
	v_dual_cndmask_b32 v16, v16, v53, s12 :: v_dual_cndmask_b32 v18, v18, v80, s12
	s_delay_alu instid0(VALU_DEP_3) | instskip(NEXT) | instid1(VALU_DEP_3)
	v_dual_cndmask_b32 v20, v24, v123, s15 :: v_dual_cndmask_b32 v17, v17, v60, s12
	v_cndmask_b32_e64 v19, v19, v73, s12
	v_add_f64_e64 v[12:13], -v[14:15], 1.0
	s_delay_alu instid0(VALU_DEP_4) | instskip(NEXT) | instid1(VALU_DEP_4)
	v_cndmask_b32_e64 v16, v16, v51, s13
	v_dual_cndmask_b32 v18, v18, v27, s13 :: v_dual_cndmask_b32 v24, v17, v62, s13
	s_delay_alu instid0(VALU_DEP_4) | instskip(NEXT) | instid1(VALU_DEP_3)
	v_cndmask_b32_e64 v40, v19, v26, s13
	v_dual_cndmask_b32 v25, v25, v122, s15 :: v_dual_cndmask_b32 v17, v16, v31, s14
	s_delay_alu instid0(VALU_DEP_3) | instskip(NEXT) | instid1(VALU_DEP_3)
	v_dual_cndmask_b32 v19, v18, v29, s14 :: v_dual_cndmask_b32 v16, v24, v30, s14
	v_dual_cndmask_b32 v18, v40, v28, s14 :: v_dual_cndmask_b32 v24, v35, v49, s3
	v_cndmask_b32_e64 v35, v36, v68, s3
	v_cndmask_b32_e64 v42, v37, v112, s3
	s_delay_alu instid0(VALU_DEP_3) | instskip(SKIP_2) | instid1(VALU_DEP_4)
	v_dual_mul_f64 v[36:37], v[18:19], v[12:13] :: v_dual_cndmask_b32 v19, v24, v55, s4
	v_mul_f64_e32 v[40:41], v[16:17], v[12:13]
	v_dual_cndmask_b32 v17, v20, v125, s10 :: v_dual_cndmask_b32 v16, v21, v75, s3
	v_dual_cndmask_b32 v18, v25, v124, s10 :: v_dual_cndmask_b32 v21, v42, v81, s4
	s_delay_alu instid0(VALU_DEP_2) | instskip(NEXT) | instid1(VALU_DEP_3)
	v_dual_cndmask_b32 v20, v35, v58, s4 :: v_dual_cndmask_b32 v17, v17, v45, s11
	v_dual_cndmask_b32 v16, v16, v74, s4 :: v_dual_cndmask_b32 v19, v19, v53, s5
	s_delay_alu instid0(VALU_DEP_2) | instskip(NEXT) | instid1(VALU_DEP_2)
	v_dual_cndmask_b32 v18, v18, v138, s11 :: v_dual_cndmask_b32 v20, v20, v60, s5
	v_dual_cndmask_b32 v17, v17, v32, s12 :: v_dual_cndmask_b32 v16, v16, v73, s5
	s_delay_alu instid0(VALU_DEP_2) | instskip(NEXT) | instid1(VALU_DEP_2)
	v_dual_cndmask_b32 v19, v19, v51, s6 :: v_dual_cndmask_b32 v18, v18, v48, s12
	v_dual_mul_f64 v[64:65], v[2:3], v[12:13] :: v_dual_cndmask_b32 v17, v17, v59, s13
	s_delay_alu instid0(VALU_DEP_3) | instskip(NEXT) | instid1(VALU_DEP_3)
	v_dual_cndmask_b32 v21, v21, v80, s5 :: v_dual_cndmask_b32 v24, v16, v26, s6
	v_cndmask_b32_e64 v18, v18, v46, s13
	s_delay_alu instid0(VALU_DEP_3) | instskip(NEXT) | instid1(VALU_DEP_3)
	v_dual_cndmask_b32 v20, v20, v62, s6 :: v_dual_cndmask_b32 v17, v17, v57, s14
	v_dual_cndmask_b32 v21, v21, v27, s6 :: v_dual_cndmask_b32 v2, v23, v122, s2
	s_delay_alu instid0(VALU_DEP_3) | instskip(NEXT) | instid1(VALU_DEP_2)
	v_dual_cndmask_b32 v16, v18, v44, s14 :: v_dual_cndmask_b32 v19, v19, v31, s7
	v_dual_cndmask_b32 v18, v20, v30, s7 :: v_dual_cndmask_b32 v21, v21, v29, s7
	v_cndmask_b32_e64 v20, v24, v28, s7
	ds_load_b32 v35, v137 offset:40
	v_fmac_f64_e32 v[40:41], v[18:19], v[14:15]
	v_fmac_f64_e32 v[36:37], v[20:21], v[14:15]
	s_wait_dscnt 0x0
	v_cmp_eq_u32_e32 vcc_lo, 8, v35
	v_cndmask_b32_e64 v3, v22, v125, s3
	v_cmp_eq_u32_e64 s2, 7, v35
	v_cmp_eq_u32_e64 s8, 1, v35
	;; [unrolled: 1-line block ×3, first 2 shown]
	s_delay_alu instid0(VALU_DEP_3)
	v_dual_cndmask_b32 v31, v31, v41, vcc_lo :: v_dual_cndmask_b32 v26, v26, v36, s2
	v_cndmask_b32_e32 v28, v28, v36, vcc_lo
	v_dual_cndmask_b32 v2, v2, v124, s3 :: v_dual_cndmask_b32 v3, v3, v45, s4
	v_mul_f64_e32 v[42:43], v[16:17], v[12:13]
	v_cmp_eq_u32_e64 s3, 6, v35
	v_dual_cndmask_b32 v29, v29, v37, vcc_lo :: v_dual_cndmask_b32 v27, v27, v37, s2
	s_delay_alu instid0(VALU_DEP_4) | instskip(SKIP_1) | instid1(VALU_DEP_4)
	v_cndmask_b32_e64 v2, v2, v138, s4
	v_cmp_eq_u32_e64 s4, 5, v35
	v_dual_cndmask_b32 v51, v51, v41, s2 :: v_dual_cndmask_b32 v53, v53, v41, s3
	v_dual_cndmask_b32 v25, v80, v37, s3 :: v_dual_cndmask_b32 v24, v73, v36, s3
	s_delay_alu instid0(VALU_DEP_4) | instskip(SKIP_3) | instid1(VALU_DEP_3)
	v_cndmask_b32_e64 v2, v2, v48, s5
	v_cndmask_b32_e64 v3, v3, v32, s5
	v_cmp_eq_u32_e64 s5, 4, v35
	v_dual_cndmask_b32 v55, v55, v41, s4 :: v_dual_cndmask_b32 v22, v74, v36, s4
	v_dual_cndmask_b32 v2, v2, v46, s6 :: v_dual_cndmask_b32 v3, v3, v59, s6
	v_cmp_eq_u32_e64 s6, 3, v35
	s_delay_alu instid0(VALU_DEP_4) | instskip(NEXT) | instid1(VALU_DEP_3)
	v_dual_cndmask_b32 v23, v81, v37, s4 :: v_dual_cndmask_b32 v21, v112, v37, s5
	v_dual_cndmask_b32 v2, v2, v44, s7 :: v_dual_cndmask_b32 v3, v3, v57, s7
	v_cmp_eq_u32_e64 s7, 2, v35
	v_dual_cndmask_b32 v129, v49, v41, s5 :: v_dual_cndmask_b32 v20, v75, v36, s5
	v_dual_cndmask_b32 v127, v127, v41, s6 :: v_dual_cndmask_b32 v18, v76, v36, s6
	s_delay_alu instid0(VALU_DEP_3)
	v_dual_cndmask_b32 v19, v114, v37, s6 :: v_dual_cndmask_b32 v17, v116, v37, s7
	v_dual_cndmask_b32 v113, v113, v41, s7 :: v_dual_cndmask_b32 v115, v115, v41, s8
	v_cndmask_b32_e64 v16, v77, v36, s7
	v_fmac_f64_e32 v[42:43], v[2:3], v[14:15]
	v_lshl_add_u32 v2, v35, 2, v134
	v_dual_cndmask_b32 v13, v128, v37, s9 :: v_dual_cndmask_b32 v12, v79, v36, s9
	v_dual_cndmask_b32 v117, v117, v41, s9 :: v_dual_cndmask_b32 v128, v68, v40, s5
	ds_load_b32 v2, v2 offset:40
	v_dual_cndmask_b32 v112, v70, v40, s7 :: v_dual_cndmask_b32 v114, v71, v40, s8
	v_dual_cndmask_b32 v116, v72, v40, s9 :: v_dual_cndmask_b32 v30, v30, v40, vcc_lo
	v_dual_cndmask_b32 v62, v62, v40, s2 :: v_dual_cndmask_b32 v60, v60, v40, s3
	v_cndmask_b32_e64 v58, v58, v40, s4
	s_wait_dscnt 0x0
	scratch_store_b32 off, v2, off offset:4
	v_cndmask_b32_e64 v125, v125, v43, s5
	v_fmac_f64_e32 v[64:65], v[10:11], v[14:15]
	v_cndmask_b32_e64 v15, v126, v37, s8
	v_cndmask_b32_e64 v14, v78, v36, s8
	v_dual_cndmask_b32 v126, v69, v40, s6 :: v_dual_cndmask_b32 v124, v124, v42, s5
	v_dual_cndmask_b32 v122, v122, v42, s6 :: v_dual_cndmask_b32 v123, v123, v43, s6
	;; [unrolled: 1-line block ×5, first 2 shown]
	v_dual_mov_b32 v36, v136 :: v_dual_cndmask_b32 v57, v57, v43
	v_dual_cndmask_b32 v44, v44, v42, vcc_lo :: v_dual_cndmask_b32 v59, v59, v43, s2
	v_dual_cndmask_b32 v46, v46, v42, s2 :: v_dual_cndmask_b32 v49, v32, v43, s3
	v_dual_cndmask_b32 v48, v48, v42, s3 :: v_dual_cndmask_b32 v45, v45, v43, s4
	;; [unrolled: 1-line block ×6, first 2 shown]
	s_wait_xcnt 0x0
	v_dual_cndmask_b32 v2, v139, v64, s7 :: v_dual_cndmask_b32 v121, v121, v65, s9
	v_dual_cndmask_b32 v119, v119, v65, s8 :: v_dual_cndmask_b32 v120, v120, v64, s9
	v_dual_cndmask_b32 v61, v50, v65, vcc_lo :: v_dual_cndmask_b32 v52, v52, v64, s2
	v_dual_cndmask_b32 v50, v34, v64, vcc_lo :: v_dual_cndmask_b32 v47, v47, v65, s3
	v_dual_cndmask_b32 v54, v54, v64, s3 :: v_dual_cndmask_b32 v56, v56, v64, s4
	v_cndmask_b32_e64 v11, v66, v65, s4
.LBB2_77:
	s_or_b32 exec_lo, exec_lo, s30
	scratch_store_b32 off, v33, off
	s_wait_xcnt 0x0
	s_and_saveexec_b32 s3, s0
	s_cbranch_execz .LBB2_86
; %bb.78:
	v_mov_b32_e32 v32, v135
	s_mov_b32 s4, 0
	s_branch .LBB2_80
.LBB2_79:                               ;   in Loop: Header=BB2_80 Depth=1
	s_wait_xcnt 0x0
	s_or_b32 exec_lo, exec_lo, s5
	s_wait_dscnt 0x0
	v_cmp_gt_i32_e32 vcc_lo, 0, v33
	v_mov_b32_e32 v32, v33
	s_or_b32 s4, vcc_lo, s4
	s_delay_alu instid0(SALU_CYCLE_1)
	s_and_not1_b32 exec_lo, exec_lo, s4
	s_cbranch_execz .LBB2_86
.LBB2_80:                               ; =>This Inner Loop Header: Depth=1
	s_delay_alu instid0(VALU_DEP_1) | instskip(SKIP_4) | instid1(VALU_DEP_2)
	v_cmp_eq_u32_e32 vcc_lo, 1, v32
	v_cmp_eq_u32_e64 s2, 2, v32
	s_mov_b32 s5, exec_lo
	v_dual_cndmask_b32 v33, v121, v119 :: v_dual_cndmask_b32 v34, v120, v118
	v_cmp_eq_u32_e32 vcc_lo, 3, v32
	v_dual_cndmask_b32 v33, v33, v3, s2 :: v_dual_cndmask_b32 v34, v34, v2, s2
	s_mov_b32 s2, 0
	s_delay_alu instid0(VALU_DEP_1) | instskip(SKIP_1) | instid1(VALU_DEP_2)
	v_dual_cndmask_b32 v33, v33, v131 :: v_dual_cndmask_b32 v34, v34, v130
	v_cmp_eq_u32_e32 vcc_lo, 4, v32
	v_dual_cndmask_b32 v33, v33, v133 :: v_dual_cndmask_b32 v34, v34, v132
	v_cmp_eq_u32_e32 vcc_lo, 5, v32
	s_delay_alu instid0(VALU_DEP_2) | instskip(SKIP_1) | instid1(VALU_DEP_2)
	v_dual_cndmask_b32 v33, v33, v11 :: v_dual_cndmask_b32 v34, v34, v56
	v_cmp_eq_u32_e32 vcc_lo, 6, v32
	v_dual_cndmask_b32 v33, v33, v47 :: v_dual_cndmask_b32 v34, v34, v54
	v_cmp_eq_u32_e32 vcc_lo, 7, v32
	s_delay_alu instid0(VALU_DEP_2) | instskip(SKIP_1) | instid1(VALU_DEP_2)
	v_dual_cndmask_b32 v33, v33, v63 :: v_dual_cndmask_b32 v34, v34, v52
	v_cmp_eq_u32_e32 vcc_lo, 8, v32
	v_dual_cndmask_b32 v41, v33, v61 :: v_dual_cndmask_b32 v40, v34, v50
	v_lshl_add_u32 v34, v32, 2, v134
	ds_load_b32 v33, v34 offset:40
	v_cmpx_ngt_f64_e32 0, v[40:41]
	s_xor_b32 s5, exec_lo, s5
	s_cbranch_execnz .LBB2_83
; %bb.81:                               ;   in Loop: Header=BB2_80 Depth=1
	s_or_saveexec_b32 s5, s5
	v_mov_b32_e32 v37, 0
	s_xor_b32 exec_lo, exec_lo, s5
	s_cbranch_execnz .LBB2_84
.LBB2_82:                               ;   in Loop: Header=BB2_80 Depth=1
	s_or_b32 exec_lo, exec_lo, s5
	s_and_saveexec_b32 s5, s2
	s_cbranch_execz .LBB2_79
	s_branch .LBB2_85
.LBB2_83:                               ;   in Loop: Header=BB2_80 Depth=1
	scratch_load_b32 v34, off, off
	s_wait_loadcnt 0x0
	v_cmp_eq_u32_e32 vcc_lo, -1, v34
                                        ; implicit-def: $vgpr34
	s_and_b32 s2, vcc_lo, exec_lo
	s_wait_xcnt 0x0
	s_or_saveexec_b32 s5, s5
	v_mov_b32_e32 v37, 0
	s_xor_b32 exec_lo, exec_lo, s5
	s_cbranch_execz .LBB2_82
.LBB2_84:                               ;   in Loop: Header=BB2_80 Depth=1
	scratch_load_b32 v40, off, off offset:4
	v_mov_b32_e32 v37, 4
	s_or_b32 s2, s2, exec_lo
	s_wait_loadcnt 0x0
	ds_store_b32 v34, v40 offset:40
	s_wait_xcnt 0x0
	s_or_b32 exec_lo, exec_lo, s5
	s_and_saveexec_b32 s5, s2
	s_cbranch_execz .LBB2_79
.LBB2_85:                               ;   in Loop: Header=BB2_80 Depth=1
	scratch_store_b32 v37, v32, off
	s_branch .LBB2_79
.LBB2_86:
	s_or_b32 exec_lo, exec_lo, s3
	s_and_saveexec_b32 s2, s1
	s_cbranch_execz .LBB2_88
; %bb.87:
	v_cmp_gt_f64_e32 vcc_lo, 0, v[0:1]
	v_lshl_add_u32 v32, v38, 2, v134
	v_lshl_add_u32 v1, v36, 2, v134
	;; [unrolled: 1-line block ×3, first 2 shown]
	s_and_b32 s1, s0, vcc_lo
	s_delay_alu instid0(SALU_CYCLE_1) | instskip(NEXT) | instid1(SALU_CYCLE_1)
	s_or_b32 s1, s27, s1
	v_cndmask_b32_e64 v33, v39, -1, s1
	ds_store_b32 v32, v36 offset:40
	ds_store_b32 v1, v35 offset:40
	;; [unrolled: 1-line block ×3, first 2 shown]
.LBB2_88:
	s_or_b32 exec_lo, exec_lo, s2
	scratch_load_b32 v40, off, off
	v_mov_b64_e32 v[38:39], 0
	v_mov_b64_e32 v[34:35], 0
	;; [unrolled: 1-line block ×5, first 2 shown]
	s_mov_b32 s8, exec_lo
	s_wait_loadcnt 0x0
	v_cmpx_lt_i32_e32 -1, v40
	s_cbranch_execz .LBB2_94
; %bb.89:
	v_lshl_add_u32 v0, v40, 2, v134
	v_mov_b64_e32 v[32:33], 0
	v_mov_b64_e32 v[36:37], 0
	v_mov_b64_e32 v[34:35], 0
	s_mov_b32 s9, exec_lo
	ds_load_b32 v66, v0 offset:40
	s_wait_dscnt 0x0
	v_lshl_add_u32 v0, v66, 2, v134
	ds_load_b32 v138, v0 offset:40
	v_mov_b64_e32 v[0:1], 0
	s_wait_dscnt 0x0
	v_cmpx_lt_i32_e32 -1, v138
	s_cbranch_execz .LBB2_93
; %bb.90:
	v_cmp_eq_u32_e32 vcc_lo, 1, v40
	v_cmp_eq_u32_e64 s1, 2, v40
	v_cmp_eq_u32_e64 s2, 3, v40
	;; [unrolled: 1-line block ×4, first 2 shown]
	v_dual_cndmask_b32 v0, v117, v115 :: v_dual_cndmask_b32 v1, v116, v114
	v_cmp_eq_u32_e64 s5, 6, v40
	v_cmp_eq_u32_e64 s6, 7, v40
	;; [unrolled: 1-line block ×3, first 2 shown]
	s_delay_alu instid0(VALU_DEP_4) | instskip(SKIP_3) | instid1(VALU_DEP_4)
	v_dual_cndmask_b32 v0, v0, v113, s1 :: v_dual_cndmask_b32 v1, v1, v112, s1
	v_mov_b64_e32 v[34:35], 0
	v_mov_b64_e32 v[36:37], 0
	;; [unrolled: 1-line block ×3, first 2 shown]
	v_dual_cndmask_b32 v0, v0, v127, s2 :: v_dual_cndmask_b32 v1, v1, v126, s2
	s_mov_b32 s10, 0
	s_delay_alu instid0(VALU_DEP_1) | instskip(NEXT) | instid1(VALU_DEP_1)
	v_dual_cndmask_b32 v0, v0, v129, s3 :: v_dual_cndmask_b32 v1, v1, v128, s3
	v_dual_cndmask_b32 v0, v0, v55, s4 :: v_dual_cndmask_b32 v1, v1, v58, s4
	s_delay_alu instid0(VALU_DEP_1) | instskip(NEXT) | instid1(VALU_DEP_1)
	v_dual_cndmask_b32 v0, v0, v53, s5 :: v_dual_cndmask_b32 v1, v1, v60, s5
	v_dual_cndmask_b32 v0, v0, v51, s6 :: v_dual_cndmask_b32 v1, v1, v62, s6
	s_delay_alu instid0(VALU_DEP_1) | instskip(SKIP_1) | instid1(VALU_DEP_1)
	v_dual_cndmask_b32 v41, v0, v31, s7 :: v_dual_cndmask_b32 v40, v1, v30, s7
	v_dual_cndmask_b32 v0, v13, v15 :: v_dual_cndmask_b32 v1, v12, v14
	v_dual_cndmask_b32 v0, v0, v17, s1 :: v_dual_cndmask_b32 v1, v1, v16, s1
	s_delay_alu instid0(VALU_DEP_1) | instskip(NEXT) | instid1(VALU_DEP_1)
	v_dual_cndmask_b32 v0, v0, v19, s2 :: v_dual_cndmask_b32 v1, v1, v18, s2
	v_dual_cndmask_b32 v0, v0, v21, s3 :: v_dual_cndmask_b32 v1, v1, v20, s3
	s_delay_alu instid0(VALU_DEP_1) | instskip(NEXT) | instid1(VALU_DEP_1)
	v_dual_cndmask_b32 v0, v0, v23, s4 :: v_dual_cndmask_b32 v1, v1, v22, s4
	;; [unrolled: 3-line block ×3, first 2 shown]
	v_dual_cndmask_b32 v43, v0, v29, s7 :: v_dual_cndmask_b32 v42, v1, v28, s7
	v_dual_cndmask_b32 v0, v111, v109 :: v_dual_cndmask_b32 v1, v110, v108
	v_cmp_eq_u32_e32 vcc_lo, 1, v66
	s_delay_alu instid0(VALU_DEP_2) | instskip(SKIP_1) | instid1(VALU_DEP_2)
	v_dual_cndmask_b32 v0, v0, v107, s1 :: v_dual_cndmask_b32 v1, v1, v106, s1
	v_cmp_eq_u32_e64 s1, 2, v66
	v_dual_cndmask_b32 v0, v0, v123, s2 :: v_dual_cndmask_b32 v1, v1, v122, s2
	v_cmp_eq_u32_e64 s2, 3, v66
	s_delay_alu instid0(VALU_DEP_2) | instskip(SKIP_1) | instid1(VALU_DEP_2)
	v_dual_cndmask_b32 v0, v0, v125, s3 :: v_dual_cndmask_b32 v1, v1, v124, s3
	v_cmp_eq_u32_e64 s3, 4, v66
	v_dual_cndmask_b32 v0, v0, v45, s4 :: v_dual_cndmask_b32 v1, v1, v10, s4
	v_cmp_eq_u32_e64 s4, 5, v66
	;; [unrolled: 5-line block ×3, first 2 shown]
	s_delay_alu instid0(VALU_DEP_2) | instskip(SKIP_2) | instid1(VALU_DEP_3)
	v_dual_cndmask_b32 v65, v0, v57, s7 :: v_dual_cndmask_b32 v64, v1, v44, s7
	v_dual_cndmask_b32 v0, v13, v15 :: v_dual_cndmask_b32 v1, v12, v14
	v_cmp_eq_u32_e64 s7, 8, v66
	v_mul_f64_e32 v[68:69], v[64:65], v[40:41]
	s_delay_alu instid0(VALU_DEP_3) | instskip(SKIP_2) | instid1(VALU_DEP_3)
	v_dual_cndmask_b32 v0, v0, v17, s1 :: v_dual_cndmask_b32 v1, v1, v16, s1
	v_mul_f64_e32 v[70:71], v[42:43], v[64:65]
	v_mul_f64_e32 v[72:73], v[64:65], v[64:65]
	v_dual_cndmask_b32 v0, v0, v19, s2 :: v_dual_cndmask_b32 v1, v1, v18, s2
	s_delay_alu instid0(VALU_DEP_1) | instskip(NEXT) | instid1(VALU_DEP_1)
	v_dual_cndmask_b32 v0, v0, v21, s3 :: v_dual_cndmask_b32 v1, v1, v20, s3
	v_dual_cndmask_b32 v0, v0, v23, s4 :: v_dual_cndmask_b32 v1, v1, v22, s4
	s_delay_alu instid0(VALU_DEP_1) | instskip(NEXT) | instid1(VALU_DEP_1)
	v_dual_cndmask_b32 v0, v0, v25, s5 :: v_dual_cndmask_b32 v1, v1, v24, s5
	v_dual_cndmask_b32 v0, v0, v27, s6 :: v_dual_cndmask_b32 v1, v1, v26, s6
	s_delay_alu instid0(VALU_DEP_1) | instskip(SKIP_1) | instid1(VALU_DEP_1)
	v_dual_cndmask_b32 v67, v0, v29, s7 :: v_dual_cndmask_b32 v66, v1, v28, s7
	v_dual_cndmask_b32 v0, v117, v115 :: v_dual_cndmask_b32 v1, v116, v114
	v_dual_add_f64 v[80:81], v[66:67], -v[42:43] :: v_dual_cndmask_b32 v0, v0, v113, s1
	s_delay_alu instid0(VALU_DEP_1) | instskip(NEXT) | instid1(VALU_DEP_1)
	v_dual_cndmask_b32 v1, v1, v112, s1 :: v_dual_cndmask_b32 v0, v0, v127, s2
	v_dual_cndmask_b32 v1, v1, v126, s2 :: v_dual_cndmask_b32 v0, v0, v129, s3
	s_delay_alu instid0(VALU_DEP_1) | instskip(NEXT) | instid1(VALU_DEP_1)
	v_dual_cndmask_b32 v1, v1, v128, s3 :: v_dual_cndmask_b32 v0, v0, v55, s4
	v_dual_cndmask_b32 v1, v1, v58, s4 :: v_dual_cndmask_b32 v0, v0, v53, s5
	;; [unrolled: 3-line block ×3, first 2 shown]
	s_delay_alu instid0(VALU_DEP_1) | instskip(SKIP_1) | instid1(VALU_DEP_2)
	v_dual_cndmask_b32 v74, v1, v30, s7 :: v_dual_cndmask_b32 v0, v111, v109, vcc_lo
	v_cndmask_b32_e32 v1, v110, v108, vcc_lo
	v_dual_add_f64 v[78:79], v[74:75], -v[40:41] :: v_dual_cndmask_b32 v0, v0, v107, s1
	s_delay_alu instid0(VALU_DEP_1) | instskip(NEXT) | instid1(VALU_DEP_1)
	v_dual_cndmask_b32 v1, v1, v106, s1 :: v_dual_cndmask_b32 v0, v0, v123, s2
	v_dual_cndmask_b32 v1, v1, v122, s2 :: v_dual_cndmask_b32 v0, v0, v125, s3
	s_delay_alu instid0(VALU_DEP_1) | instskip(NEXT) | instid1(VALU_DEP_1)
	v_dual_cndmask_b32 v1, v1, v124, s3 :: v_dual_cndmask_b32 v0, v0, v45, s4
	v_dual_cndmask_b32 v1, v1, v10, s4 :: v_dual_cndmask_b32 v0, v0, v49, s5
	s_delay_alu instid0(VALU_DEP_1) | instskip(NEXT) | instid1(VALU_DEP_1)
	v_dual_cndmask_b32 v1, v1, v48, s5 :: v_dual_cndmask_b32 v0, v0, v59, s6
	v_dual_cndmask_b32 v1, v1, v46, s6 :: v_dual_cndmask_b32 v77, v0, v57, s7
	s_delay_alu instid0(VALU_DEP_1)
	v_cndmask_b32_e64 v76, v1, v44, s7
	v_mov_b64_e32 v[0:1], 0
.LBB2_91:                               ; =>This Inner Loop Header: Depth=1
	v_cmp_eq_u32_e32 vcc_lo, 1, v138
	v_cmp_eq_u32_e64 s1, 2, v138
	v_cmp_eq_u32_e64 s2, 3, v138
	;; [unrolled: 1-line block ×4, first 2 shown]
	v_dual_cndmask_b32 v139, v117, v115 :: v_dual_cndmask_b32 v140, v116, v114
	v_cmp_eq_u32_e64 s5, 6, v138
	v_cmp_eq_u32_e64 s6, 7, v138
	;; [unrolled: 1-line block ×3, first 2 shown]
	s_delay_alu instid0(VALU_DEP_4) | instskip(SKIP_2) | instid1(VALU_DEP_3)
	v_dual_cndmask_b32 v139, v139, v113, s1 :: v_dual_cndmask_b32 v140, v140, v112, s1
	v_fma_f64 v[150:151], v[76:77], v[76:77], v[72:73]
	v_add_f64_e32 v[152:153], v[64:65], v[76:77]
	v_dual_cndmask_b32 v142, v12, v14, vcc_lo :: v_dual_cndmask_b32 v139, v139, v127, s2
	s_delay_alu instid0(VALU_DEP_1) | instskip(NEXT) | instid1(VALU_DEP_1)
	v_dual_cndmask_b32 v140, v140, v126, s2 :: v_dual_cndmask_b32 v142, v142, v16, s1
	v_dual_cndmask_b32 v139, v139, v129, s3 :: v_dual_cndmask_b32 v140, v140, v128, s3
	s_delay_alu instid0(VALU_DEP_1) | instskip(NEXT) | instid1(VALU_DEP_1)
	v_dual_cndmask_b32 v142, v142, v18, s2 :: v_dual_cndmask_b32 v139, v139, v55, s4
	v_dual_cndmask_b32 v140, v140, v58, s4 :: v_dual_cndmask_b32 v142, v142, v20, s3
	;; [unrolled: 3-line block ×4, first 2 shown]
	s_delay_alu instid0(VALU_DEP_2) | instskip(NEXT) | instid1(VALU_DEP_2)
	v_dual_cndmask_b32 v139, v13, v15, vcc_lo :: v_dual_cndmask_b32 v142, v142, v26, s6
	v_add_f64_e64 v[144:145], v[140:141], -v[40:41]
	s_delay_alu instid0(VALU_DEP_2) | instskip(NEXT) | instid1(VALU_DEP_1)
	v_dual_cndmask_b32 v139, v139, v17, s1 :: v_dual_cndmask_b32 v142, v142, v28, s7
	v_cndmask_b32_e64 v139, v139, v19, s2
	s_delay_alu instid0(VALU_DEP_1) | instskip(NEXT) | instid1(VALU_DEP_1)
	v_cndmask_b32_e64 v139, v139, v21, s3
	v_cndmask_b32_e64 v139, v139, v23, s4
	s_delay_alu instid0(VALU_DEP_1) | instskip(NEXT) | instid1(VALU_DEP_1)
	v_cndmask_b32_e64 v139, v139, v25, s5
	v_cndmask_b32_e64 v139, v139, v27, s6
	s_delay_alu instid0(VALU_DEP_1) | instskip(SKIP_1) | instid1(VALU_DEP_2)
	v_cndmask_b32_e64 v143, v139, v29, s7
	v_mul_f64_e32 v[80:81], v[144:145], v[80:81]
	v_add_f64_e64 v[146:147], v[142:143], -v[42:43]
	s_delay_alu instid0(VALU_DEP_1) | instskip(SKIP_1) | instid1(VALU_DEP_1)
	v_fma_f64 v[78:79], v[146:147], v[78:79], -v[80:81]
	v_dual_cndmask_b32 v80, v111, v109 :: v_dual_cndmask_b32 v81, v110, v108
	v_dual_cndmask_b32 v80, v80, v107, s1 :: v_dual_cndmask_b32 v81, v81, v106, s1
	s_delay_alu instid0(VALU_DEP_1) | instskip(NEXT) | instid1(VALU_DEP_1)
	v_dual_cndmask_b32 v80, v80, v123, s2 :: v_dual_cndmask_b32 v81, v81, v122, s2
	v_dual_cndmask_b32 v80, v80, v125, s3 :: v_dual_cndmask_b32 v81, v81, v124, s3
	s_delay_alu instid0(VALU_DEP_1) | instskip(NEXT) | instid1(VALU_DEP_1)
	v_dual_cndmask_b32 v80, v80, v45, s4 :: v_dual_cndmask_b32 v81, v81, v10, s4
	;; [unrolled: 3-line block ×3, first 2 shown]
	v_dual_cndmask_b32 v149, v80, v57, s7 :: v_dual_cndmask_b32 v148, v81, v44, s7
	v_add_f64_e32 v[80:81], v[40:41], v[74:75]
	v_fma_f64 v[74:75], v[74:75], v[76:77], v[68:69]
	s_delay_alu instid0(VALU_DEP_3) | instskip(SKIP_1) | instid1(VALU_DEP_4)
	v_fmac_f64_e32 v[150:151], v[148:149], v[148:149]
	v_add_f64_e32 v[152:153], v[148:149], v[152:153]
	v_add_f64_e32 v[80:81], v[80:81], v[140:141]
	s_delay_alu instid0(VALU_DEP_4) | instskip(NEXT) | instid1(VALU_DEP_4)
	v_fmac_f64_e32 v[74:75], v[148:149], v[140:141]
	v_fmac_f64_e32 v[150:151], v[64:65], v[76:77]
	s_delay_alu instid0(VALU_DEP_4) | instskip(SKIP_1) | instid1(VALU_DEP_3)
	v_mul_f64_e32 v[154:155], v[152:153], v[78:79]
	v_fmac_f64_e32 v[34:35], v[152:153], v[78:79]
	v_fmac_f64_e32 v[150:151], v[64:65], v[148:149]
	s_delay_alu instid0(VALU_DEP_3) | instskip(NEXT) | instid1(VALU_DEP_2)
	v_mul_f64_e32 v[80:81], v[80:81], v[154:155]
	v_fmac_f64_e32 v[150:151], v[148:149], v[76:77]
	v_fma_f64 v[76:77], v[66:67], v[76:77], v[70:71]
	v_add_f64_e32 v[66:67], v[42:43], v[66:67]
	s_delay_alu instid0(VALU_DEP_4)
	v_fmac_f64_e32 v[80:81], v[74:75], v[78:79]
	v_mov_b64_e32 v[74:75], v[140:141]
	v_fmac_f64_e32 v[0:1], v[78:79], v[150:151]
	v_fmac_f64_e32 v[76:77], v[142:143], v[148:149]
	v_add_f64_e32 v[66:67], v[142:143], v[66:67]
	v_add_f64_e32 v[36:37], v[36:37], v[80:81]
	v_mov_b64_e32 v[80:81], v[146:147]
	s_delay_alu instid0(VALU_DEP_3) | instskip(NEXT) | instid1(VALU_DEP_1)
	v_mul_f64_e32 v[66:67], v[66:67], v[154:155]
	v_fmac_f64_e32 v[66:67], v[76:77], v[78:79]
	v_mov_b64_e32 v[78:79], v[144:145]
	v_mov_b64_e32 v[76:77], v[148:149]
	s_delay_alu instid0(VALU_DEP_3)
	v_add_f64_e32 v[32:33], v[32:33], v[66:67]
	v_lshl_add_u32 v66, v138, 2, v134
	ds_load_b32 v138, v66 offset:40
	v_mov_b64_e32 v[66:67], v[142:143]
	s_wait_dscnt 0x0
	v_cmp_gt_i32_e32 vcc_lo, 0, v138
	s_or_b32 s10, vcc_lo, s10
	s_delay_alu instid0(SALU_CYCLE_1)
	s_and_not1_b32 exec_lo, exec_lo, s10
	s_cbranch_execnz .LBB2_91
; %bb.92:
	s_or_b32 exec_lo, exec_lo, s10
.LBB2_93:
	s_delay_alu instid0(SALU_CYCLE_1)
	s_or_b32 exec_lo, exec_lo, s9
.LBB2_94:
	s_delay_alu instid0(SALU_CYCLE_1)
	s_or_b32 exec_lo, exec_lo, s8
	s_and_saveexec_b32 s9, s0
	s_cbranch_execz .LBB2_98
; %bb.95:
	v_mov_b32_e32 v38, v135
	s_mov_b64 s[10:11], 0xb58dee7a4ad4b81f
	s_mov_b32 s12, 0
.LBB2_96:                               ; =>This Inner Loop Header: Depth=1
	s_delay_alu instid0(VALU_DEP_1)
	v_cmp_eq_u32_e32 vcc_lo, 1, v38
	v_cmp_eq_u32_e64 s1, 2, v38
	v_cmp_eq_u32_e64 s2, 3, v38
	;; [unrolled: 1-line block ×4, first 2 shown]
	v_dual_cndmask_b32 v39, v121, v119 :: v_dual_cndmask_b32 v40, v120, v118
	v_cmp_eq_u32_e64 s5, 6, v38
	v_cmp_eq_u32_e64 s6, 7, v38
	;; [unrolled: 1-line block ×3, first 2 shown]
	s_delay_alu instid0(VALU_DEP_4) | instskip(SKIP_2) | instid1(VALU_DEP_3)
	v_dual_cndmask_b32 v39, v39, v3, s1 :: v_dual_cndmask_b32 v40, v40, v2, s1
	v_cmp_eq_u32_e64 s8, 0, v38
	v_lshl_add_u32 v38, v38, 2, v134
	v_dual_cndmask_b32 v39, v39, v131, s2 :: v_dual_cndmask_b32 v40, v40, v130, s2
	ds_load_b32 v38, v38
	v_dual_cndmask_b32 v39, v39, v133, s3 :: v_dual_cndmask_b32 v40, v40, v132, s3
	s_delay_alu instid0(VALU_DEP_1) | instskip(NEXT) | instid1(VALU_DEP_1)
	v_dual_cndmask_b32 v39, v39, v11, s4 :: v_dual_cndmask_b32 v40, v40, v56, s4
	v_dual_cndmask_b32 v39, v39, v47, s5 :: v_dual_cndmask_b32 v40, v40, v54, s5
	s_delay_alu instid0(VALU_DEP_1) | instskip(NEXT) | instid1(VALU_DEP_1)
	v_dual_cndmask_b32 v39, v39, v63, s6 :: v_dual_cndmask_b32 v40, v40, v52, s6
	v_dual_cndmask_b32 v41, v39, v61, s7 :: v_dual_cndmask_b32 v40, v40, v50, s7
	s_delay_alu instid0(VALU_DEP_1) | instskip(NEXT) | instid1(VALU_DEP_1)
	v_add_f64_e64 v[40:41], -v[40:41], s[10:11]
	v_dual_cndmask_b32 v119, v119, v41 :: v_dual_cndmask_b32 v118, v118, v40
	s_wait_dscnt 0x0
	v_cmp_gt_i32_e32 vcc_lo, 0, v38
	v_dual_cndmask_b32 v61, v61, v41, s7 :: v_dual_cndmask_b32 v50, v50, v40, s7
	v_dual_cndmask_b32 v63, v63, v41, s6 :: v_dual_cndmask_b32 v52, v52, v40, s6
	;; [unrolled: 1-line block ×8, first 2 shown]
	s_or_b32 s12, vcc_lo, s12
	s_delay_alu instid0(SALU_CYCLE_1)
	s_and_not1_b32 exec_lo, exec_lo, s12
	s_cbranch_execnz .LBB2_96
; %bb.97:
	s_or_b32 exec_lo, exec_lo, s12
	v_cmp_eq_u32_e32 vcc_lo, 1, v135
	v_cmp_eq_u32_e64 s1, 2, v135
	v_dual_cndmask_b32 v38, v121, v119 :: v_dual_cndmask_b32 v39, v120, v118
	v_cmp_eq_u32_e32 vcc_lo, 3, v135
	s_delay_alu instid0(VALU_DEP_2) | instskip(NEXT) | instid1(VALU_DEP_1)
	v_dual_cndmask_b32 v38, v38, v3, s1 :: v_dual_cndmask_b32 v39, v39, v2, s1
	v_dual_cndmask_b32 v38, v38, v131 :: v_dual_cndmask_b32 v39, v39, v130
	v_cmp_eq_u32_e32 vcc_lo, 4, v135
	s_delay_alu instid0(VALU_DEP_2) | instskip(SKIP_1) | instid1(VALU_DEP_2)
	v_dual_cndmask_b32 v38, v38, v133 :: v_dual_cndmask_b32 v39, v39, v132
	v_cmp_eq_u32_e32 vcc_lo, 5, v135
	v_dual_cndmask_b32 v38, v38, v11 :: v_dual_cndmask_b32 v39, v39, v56
	v_cmp_eq_u32_e32 vcc_lo, 6, v135
	s_delay_alu instid0(VALU_DEP_2) | instskip(SKIP_1) | instid1(VALU_DEP_2)
	v_dual_cndmask_b32 v38, v38, v47 :: v_dual_cndmask_b32 v39, v39, v54
	v_cmp_eq_u32_e32 vcc_lo, 7, v135
	v_dual_cndmask_b32 v38, v38, v63, vcc_lo :: v_dual_cndmask_b32 v40, v39, v52, vcc_lo
	v_cmp_eq_u32_e32 vcc_lo, 8, v135
	s_delay_alu instid0(VALU_DEP_2)
	v_dual_cndmask_b32 v39, v38, v61 :: v_dual_cndmask_b32 v38, v40, v50
.LBB2_98:
	s_or_b32 exec_lo, exec_lo, s9
	v_mov_b64_e32 v[42:43], -1
	v_mov_b64_e32 v[64:65], -1
	s_delay_alu instid0(VALU_DEP_3)
	v_mov_b64_e32 v[40:41], v[38:39]
	v_dual_mov_b32 v43, -1 :: v_dual_mov_b32 v65, -1
	s_and_saveexec_b32 s5, s0
	s_cbranch_execz .LBB2_102
; %bb.99:
	v_mov_b64_e32 v[66:67], v[38:39]
	v_dual_mov_b32 v43, -1 :: v_dual_mov_b32 v68, v135
	v_dual_mov_b32 v42, -1 :: v_dual_mov_b32 v64, -1
	v_mov_b32_e32 v65, -1
	s_mov_b32 s6, 0
.LBB2_100:                              ; =>This Inner Loop Header: Depth=1
	s_delay_alu instid0(VALU_DEP_1) | instskip(SKIP_4) | instid1(VALU_DEP_1)
	v_lshl_add_u32 v40, v68, 2, v134
	ds_load_b32 v69, v40
	s_wait_dscnt 0x0
	v_cmp_gt_i32_e32 vcc_lo, 0, v69
	v_cndmask_b32_e32 v72, v69, v135, vcc_lo
	v_cmp_eq_u32_e64 s1, 1, v72
	s_delay_alu instid0(VALU_DEP_1) | instskip(SKIP_2) | instid1(VALU_DEP_2)
	v_dual_cndmask_b32 v41, v120, v118, s1 :: v_dual_cndmask_b32 v40, v121, v119, s1
	v_cmp_eq_u32_e64 s2, 2, v72
	v_cmp_eq_u32_e64 s1, 3, v72
	v_dual_cndmask_b32 v40, v40, v3, s2 :: v_dual_cndmask_b32 v41, v41, v2, s2
	s_delay_alu instid0(VALU_DEP_1) | instskip(SKIP_1) | instid1(VALU_DEP_1)
	v_dual_cndmask_b32 v40, v40, v131, s1 :: v_dual_cndmask_b32 v41, v41, v130, s1
	v_cmp_eq_u32_e64 s1, 4, v72
	v_dual_cndmask_b32 v40, v40, v133, s1 :: v_dual_cndmask_b32 v41, v41, v132, s1
	v_cmp_eq_u32_e64 s1, 5, v72
	s_delay_alu instid0(VALU_DEP_1) | instskip(SKIP_1) | instid1(VALU_DEP_1)
	v_dual_cndmask_b32 v40, v40, v11, s1 :: v_dual_cndmask_b32 v41, v41, v56, s1
	v_cmp_eq_u32_e64 s1, 6, v72
	v_dual_cndmask_b32 v40, v40, v47, s1 :: v_dual_cndmask_b32 v41, v41, v54, s1
	v_cmp_eq_u32_e64 s1, 7, v72
	s_delay_alu instid0(VALU_DEP_1) | instskip(SKIP_1) | instid1(VALU_DEP_1)
	v_dual_cndmask_b32 v40, v40, v63, s1 :: v_dual_cndmask_b32 v41, v41, v52, s1
	v_cmp_eq_u32_e64 s1, 8, v72
	v_dual_cndmask_b32 v71, v40, v61, s1 :: v_dual_cndmask_b32 v70, v41, v50, s1
	v_mov_b64_e32 v[40:41], v[66:67]
	s_delay_alu instid0(VALU_DEP_2) | instskip(SKIP_2) | instid1(VALU_DEP_4)
	v_cmp_gt_f64_e64 s2, 0, v[70:71]
	v_cmp_le_f64_e64 s4, 0, v[70:71]
	v_mov_b64_e32 v[66:67], v[70:71]
	v_cmp_le_f64_e64 s1, 0, v[40:41]
	v_cmp_gt_f64_e64 s3, 0, v[40:41]
	s_and_b32 s1, s1, s2
	s_and_b32 s2, s3, s4
	s_delay_alu instid0(SALU_CYCLE_1) | instskip(SKIP_3) | instid1(SALU_CYCLE_1)
	v_dual_cndmask_b32 v64, v64, v72, s1 :: v_dual_cndmask_b32 v65, v65, v72, s2
	v_dual_cndmask_b32 v43, v43, v68, s1 :: v_dual_cndmask_b32 v42, v42, v68, s2
	v_mov_b32_e32 v68, v69
	s_or_b32 s6, vcc_lo, s6
	s_and_not1_b32 exec_lo, exec_lo, s6
	s_cbranch_execnz .LBB2_100
; %bb.101:
	s_or_b32 exec_lo, exec_lo, s6
.LBB2_102:
	s_delay_alu instid0(SALU_CYCLE_1)
	s_or_b32 exec_lo, exec_lo, s5
	v_dual_mov_b32 v66, -1 :: v_dual_mov_b32 v68, -1
	v_cmp_lt_i32_e64 s1, -1, v43
	v_mov_b32_e32 v67, -1
	s_and_saveexec_b32 s27, s1
	s_cbranch_execz .LBB2_104
; %bb.103:
	v_cmp_eq_u32_e64 s2, 1, v64
	v_cmp_eq_u32_e64 s3, 2, v64
	v_cmp_eq_u32_e64 s4, 3, v64
	v_cmp_eq_u32_e64 s5, 4, v64
	v_cmp_eq_u32_e64 s6, 5, v64
	v_cndmask_b32_e64 v67, v121, v119, s2
	v_cmp_eq_u32_e64 s9, 6, v64
	v_cmp_eq_u32_e64 s10, 7, v64
	v_cmp_eq_u32_e64 s11, 8, v64
	s_delay_alu instid0(VALU_DEP_4) | instskip(SKIP_3) | instid1(VALU_DEP_4)
	v_dual_cndmask_b32 v64, v120, v118, s2 :: v_dual_cndmask_b32 v67, v67, v3, s3
	v_cmp_eq_u32_e64 s12, 1, v43
	v_cmp_eq_u32_e64 s13, 2, v43
	v_cmp_eq_u32_e64 s14, 3, v43
	v_dual_cndmask_b32 v64, v64, v2, s3 :: v_dual_cndmask_b32 v67, v67, v131, s4
	v_cmp_eq_u32_e64 s15, 4, v43
	v_cmp_eq_u32_e64 s16, 5, v43
	v_cmp_eq_u32_e64 s17, 6, v43
	s_delay_alu instid0(VALU_DEP_4) | instskip(SKIP_3) | instid1(VALU_DEP_4)
	v_dual_cndmask_b32 v64, v64, v130, s4 :: v_dual_cndmask_b32 v67, v67, v133, s5
	v_cmp_eq_u32_e64 s18, 7, v43
	v_cmp_eq_u32_e64 s19, 8, v43
	v_cmp_eq_u32_e64 s8, 5, v136
	v_dual_cndmask_b32 v64, v64, v132, s5 :: v_dual_cndmask_b32 v67, v67, v11, s6
	;; [unrolled: 9-line block ×3, first 2 shown]
	v_cmp_eq_u32_e64 s24, 4, v136
	s_delay_alu instid0(VALU_DEP_2) | instskip(SKIP_1) | instid1(VALU_DEP_2)
	v_dual_cndmask_b32 v64, v64, v52, s10 :: v_dual_cndmask_b32 v69, v67, v61, s11
	v_cndmask_b32_e64 v67, v120, v118, s12
	v_dual_cndmask_b32 v68, v64, v50, s11 :: v_dual_cndmask_b32 v64, v121, v119, s12
	s_delay_alu instid0(VALU_DEP_2) | instskip(NEXT) | instid1(VALU_DEP_2)
	v_cndmask_b32_e64 v67, v67, v2, s13
	v_add_f64_e64 v[72:73], -v[68:69], 0
	s_delay_alu instid0(VALU_DEP_2) | instskip(NEXT) | instid1(VALU_DEP_1)
	v_dual_cndmask_b32 v64, v64, v3, s13 :: v_dual_cndmask_b32 v67, v67, v130, s14
	v_dual_cndmask_b32 v64, v64, v131, s14 :: v_dual_cndmask_b32 v67, v67, v132, s15
	s_delay_alu instid0(VALU_DEP_1) | instskip(NEXT) | instid1(VALU_DEP_1)
	v_dual_cndmask_b32 v64, v64, v133, s15 :: v_dual_cndmask_b32 v67, v67, v56, s16
	v_dual_cndmask_b32 v64, v64, v11, s16 :: v_dual_cndmask_b32 v67, v67, v54, s17
	s_delay_alu instid0(VALU_DEP_1) | instskip(NEXT) | instid1(VALU_DEP_1)
	v_dual_cndmask_b32 v64, v64, v47, s17 :: v_dual_cndmask_b32 v67, v67, v52, s18
	v_dual_cndmask_b32 v64, v64, v63, s18 :: v_dual_cndmask_b32 v70, v67, v50, s19
	v_cndmask_b32_e64 v67, v116, v114, s12
	s_delay_alu instid0(VALU_DEP_2) | instskip(NEXT) | instid1(VALU_DEP_2)
	v_dual_cndmask_b32 v71, v64, v61, s19 :: v_dual_cndmask_b32 v64, v117, v115, s12
	v_cndmask_b32_e64 v67, v67, v112, s13
	s_delay_alu instid0(VALU_DEP_2) | instskip(NEXT) | instid1(VALU_DEP_2)
	v_add_f64_e64 v[74:75], v[70:71], -v[68:69]
	v_dual_cndmask_b32 v64, v64, v113, s13 :: v_dual_cndmask_b32 v67, v67, v126, s14
	s_delay_alu instid0(VALU_DEP_1) | instskip(NEXT) | instid1(VALU_DEP_1)
	v_dual_cndmask_b32 v67, v67, v128, s15 :: v_dual_cndmask_b32 v64, v64, v127, s14
	v_dual_cndmask_b32 v67, v67, v58, s16 :: v_dual_cndmask_b32 v64, v64, v129, s15
	s_delay_alu instid0(VALU_DEP_1) | instskip(NEXT) | instid1(VALU_DEP_1)
	v_dual_cndmask_b32 v67, v67, v60, s17 :: v_dual_cndmask_b32 v64, v64, v55, s16
	v_dual_cndmask_b32 v67, v67, v62, s18 :: v_dual_cndmask_b32 v64, v64, v53, s17
	v_div_scale_f64 v[76:77], null, v[74:75], v[74:75], v[72:73]
	s_delay_alu instid0(VALU_DEP_1) | instskip(SKIP_1) | instid1(TRANS32_DEP_1)
	v_rcp_f64_e32 v[78:79], v[76:77]
	v_nop
	v_fma_f64 v[80:81], -v[76:77], v[78:79], 1.0
	s_delay_alu instid0(VALU_DEP_1) | instskip(NEXT) | instid1(VALU_DEP_1)
	v_fmac_f64_e32 v[78:79], v[78:79], v[80:81]
	v_fma_f64 v[80:81], -v[76:77], v[78:79], 1.0
	s_delay_alu instid0(VALU_DEP_1) | instskip(SKIP_1) | instid1(VALU_DEP_1)
	v_fmac_f64_e32 v[78:79], v[78:79], v[80:81]
	v_div_scale_f64 v[80:81], vcc_lo, v[72:73], v[74:75], v[72:73]
	v_mul_f64_e32 v[138:139], v[80:81], v[78:79]
	s_delay_alu instid0(VALU_DEP_1) | instskip(NEXT) | instid1(VALU_DEP_1)
	v_fma_f64 v[76:77], -v[76:77], v[138:139], v[80:81]
	v_div_fmas_f64 v[76:77], v[76:77], v[78:79], v[138:139]
	v_cmp_eq_u32_e32 vcc_lo, 8, v136
	s_delay_alu instid0(VALU_DEP_2) | instskip(SKIP_2) | instid1(VALU_DEP_1)
	v_div_fixup_f64 v[72:73], v[76:77], v[74:75], v[72:73]
	v_cndmask_b32_e64 v74, v67, v30, s19
	v_cndmask_b32_e64 v67, v116, v114, s2
	v_dual_cndmask_b32 v64, v64, v51, s18 :: v_dual_cndmask_b32 v67, v67, v112, s3
	s_delay_alu instid0(VALU_DEP_1) | instskip(NEXT) | instid1(VALU_DEP_2)
	v_cndmask_b32_e64 v75, v64, v31, s19
	v_dual_cndmask_b32 v64, v117, v115, s2 :: v_dual_cndmask_b32 v67, v67, v126, s4
	s_delay_alu instid0(VALU_DEP_1) | instskip(NEXT) | instid1(VALU_DEP_1)
	v_dual_cndmask_b32 v64, v64, v113, s3 :: v_dual_cndmask_b32 v67, v67, v128, s5
	v_dual_cndmask_b32 v64, v64, v127, s4 :: v_dual_cndmask_b32 v67, v67, v58, s6
	s_delay_alu instid0(VALU_DEP_1) | instskip(NEXT) | instid1(VALU_DEP_1)
	v_dual_cndmask_b32 v64, v64, v129, s5 :: v_dual_cndmask_b32 v67, v67, v60, s9
	v_cndmask_b32_e64 v64, v64, v55, s6
	v_add_f64_e64 v[78:79], -v[72:73], 1.0
	s_delay_alu instid0(VALU_DEP_2) | instskip(NEXT) | instid1(VALU_DEP_1)
	v_dual_cndmask_b32 v67, v67, v62, s10 :: v_dual_cndmask_b32 v64, v64, v53, s9
	v_dual_cndmask_b32 v76, v67, v30, s11 :: v_dual_cndmask_b32 v64, v64, v51, s10
	v_cndmask_b32_e64 v67, v12, v14, s2
	s_delay_alu instid0(VALU_DEP_1) | instskip(NEXT) | instid1(VALU_DEP_1)
	v_dual_cndmask_b32 v77, v64, v31, s11 :: v_dual_cndmask_b32 v67, v67, v16, s3
	v_dual_cndmask_b32 v64, v13, v15, s2 :: v_dual_cndmask_b32 v67, v67, v18, s4
	s_delay_alu instid0(VALU_DEP_1) | instskip(NEXT) | instid1(VALU_DEP_1)
	v_dual_cndmask_b32 v64, v64, v17, s3 :: v_dual_cndmask_b32 v67, v67, v20, s5
	v_dual_cndmask_b32 v64, v64, v19, s4 :: v_dual_cndmask_b32 v67, v67, v22, s6
	s_delay_alu instid0(VALU_DEP_1) | instskip(NEXT) | instid1(VALU_DEP_2)
	v_cndmask_b32_e64 v64, v64, v21, s5
	v_dual_mul_f64 v[76:77], v[76:77], v[78:79] :: v_dual_cndmask_b32 v67, v67, v24, s9
	s_delay_alu instid0(VALU_DEP_1) | instskip(NEXT) | instid1(VALU_DEP_1)
	v_dual_cndmask_b32 v64, v64, v23, s6 :: v_dual_cndmask_b32 v67, v67, v26, s10
	v_cndmask_b32_e64 v64, v64, v25, s9
	s_delay_alu instid0(VALU_DEP_1) | instskip(NEXT) | instid1(VALU_DEP_4)
	v_cndmask_b32_e64 v64, v64, v27, s10
	v_fmac_f64_e32 v[76:77], v[74:75], v[72:73]
	s_delay_alu instid0(VALU_DEP_4) | instskip(NEXT) | instid1(VALU_DEP_3)
	v_dual_cndmask_b32 v74, v67, v28, s11 :: v_dual_cndmask_b32 v67, v12, v14, s12
	v_dual_cndmask_b32 v75, v64, v29, s11 :: v_dual_cndmask_b32 v64, v13, v15, s12
	s_delay_alu instid0(VALU_DEP_2) | instskip(NEXT) | instid1(VALU_DEP_2)
	v_cndmask_b32_e64 v67, v67, v16, s13
	v_dual_mul_f64 v[74:75], v[74:75], v[78:79] :: v_dual_cndmask_b32 v64, v64, v17, s13
	s_delay_alu instid0(VALU_DEP_1) | instskip(NEXT) | instid1(VALU_DEP_1)
	v_dual_cndmask_b32 v67, v67, v18, s14 :: v_dual_cndmask_b32 v64, v64, v19, s14
	v_dual_cndmask_b32 v67, v67, v20, s15 :: v_dual_cndmask_b32 v64, v64, v21, s15
	s_delay_alu instid0(VALU_DEP_1) | instskip(NEXT) | instid1(VALU_DEP_1)
	v_dual_cndmask_b32 v67, v67, v22, s16 :: v_dual_cndmask_b32 v64, v64, v23, s16
	v_dual_cndmask_b32 v67, v67, v24, s17 :: v_dual_cndmask_b32 v64, v64, v25, s17
	s_delay_alu instid0(VALU_DEP_1) | instskip(NEXT) | instid1(VALU_DEP_2)
	v_dual_cndmask_b32 v67, v67, v26, s18 :: v_dual_cndmask_b32 v58, v58, v76, s8
	v_dual_cndmask_b32 v64, v64, v27, s18 :: v_dual_cndmask_b32 v30, v30, v76, vcc_lo
	v_dual_cndmask_b32 v62, v62, v76, s25 :: v_dual_cndmask_b32 v60, v60, v76, s7
	s_delay_alu instid0(VALU_DEP_2)
	v_dual_cndmask_b32 v80, v67, v28, s19 :: v_dual_cndmask_b32 v81, v64, v29, s19
	v_dual_cndmask_b32 v64, v128, v76, s24 :: v_dual_cndmask_b32 v114, v114, v76, s22
	v_cndmask_b32_e64 v55, v55, v77, s8
	v_dual_cndmask_b32 v31, v31, v77, vcc_lo :: v_dual_cndmask_b32 v53, v53, v77, s7
	v_cndmask_b32_e64 v115, v115, v77, s22
	v_fmac_f64_e32 v[74:75], v[80:81], v[72:73]
	v_dual_cndmask_b32 v80, v126, v76, s20 :: v_dual_cndmask_b32 v81, v112, v76, s21
	v_dual_cndmask_b32 v76, v116, v76, s23 :: v_dual_cndmask_b32 v127, v127, v77, s20
	s_delay_alu instid0(VALU_DEP_3)
	v_dual_cndmask_b32 v113, v113, v77, s21 :: v_dual_cndmask_b32 v28, v28, v74, vcc_lo
	v_cndmask_b32_e64 v128, v18, v74, s20
	v_dual_cndmask_b32 v26, v26, v74, s25 :: v_dual_cndmask_b32 v112, v24, v74, s7
	v_cndmask_b32_e64 v139, v14, v74, s22
	v_dual_cndmask_b32 v116, v22, v74, s8 :: v_dual_cndmask_b32 v126, v20, v74, s24
	v_dual_cndmask_b32 v29, v29, v75, vcc_lo :: v_dual_cndmask_b32 v138, v16, v74, s21
	v_dual_cndmask_b32 v27, v27, v75, s25 :: v_dual_cndmask_b32 v74, v12, v74, s23
	v_dual_cndmask_b32 v140, v25, v75, s7 :: v_dual_cndmask_b32 v141, v23, v75, s8
	;; [unrolled: 1-line block ×6, first 2 shown]
	v_cmp_eq_u32_e64 s2, 4, v65
	s_delay_alu instid0(VALU_DEP_3) | instskip(NEXT) | instid1(VALU_DEP_3)
	v_dual_cndmask_b32 v13, v13, v106, s3 :: v_dual_cndmask_b32 v51, v51, v77, s25
	v_dual_cndmask_b32 v12, v12, v107, s3 :: v_dual_cndmask_b32 v15, v15, v106, s13
	v_cmp_eq_u32_e64 s3, 5, v65
	s_delay_alu instid0(VALU_DEP_2) | instskip(NEXT) | instid1(VALU_DEP_3)
	v_dual_cndmask_b32 v13, v13, v122, s4 :: v_dual_cndmask_b32 v12, v12, v123, s4
	v_cndmask_b32_e64 v15, v15, v122, s14
	v_cmp_eq_u32_e64 s4, 6, v65
	s_delay_alu instid0(VALU_DEP_3) | instskip(NEXT) | instid1(VALU_DEP_3)
	v_dual_cndmask_b32 v13, v13, v124, s5 :: v_dual_cndmask_b32 v12, v12, v125, s5
	v_cndmask_b32_e64 v15, v15, v124, s15
	v_cmp_eq_u32_e64 s5, 7, v65
	s_delay_alu instid0(VALU_DEP_3) | instskip(NEXT) | instid1(VALU_DEP_3)
	;; [unrolled: 4-line block ×4, first 2 shown]
	v_dual_cndmask_b32 v14, v13, v46, s10 :: v_dual_cndmask_b32 v12, v12, v59, s10
	v_cndmask_b32_e64 v16, v15, v46, s18
	v_cmp_eq_u32_e64 s10, 1, v42
	s_delay_alu instid0(VALU_DEP_3) | instskip(SKIP_3) | instid1(VALU_DEP_3)
	v_dual_cndmask_b32 v13, v12, v57, s11 :: v_dual_cndmask_b32 v12, v14, v44, s11
	v_cndmask_b32_e64 v14, v111, v109, s12
	v_cmp_eq_u32_e64 s11, 4, v42
	v_cmp_eq_u32_e64 s12, 5, v42
	v_cndmask_b32_e64 v14, v14, v107, s13
	v_cmp_eq_u32_e64 s13, 6, v42
	s_delay_alu instid0(VALU_DEP_2) | instskip(SKIP_1) | instid1(VALU_DEP_2)
	v_cndmask_b32_e64 v14, v14, v123, s14
	v_cmp_eq_u32_e64 s14, 7, v42
	v_cndmask_b32_e64 v14, v14, v125, s15
	v_cmp_eq_u32_e64 s15, 8, v42
	s_delay_alu instid0(VALU_DEP_2) | instskip(SKIP_1) | instid1(VALU_DEP_2)
	v_cndmask_b32_e64 v14, v14, v45, s16
	v_cmp_eq_u32_e64 s16, 3, v42
	v_cndmask_b32_e64 v14, v14, v49, s17
	v_cmp_eq_u32_e64 s17, 2, v42
	v_mul_f64_e32 v[12:13], v[12:13], v[78:79]
	v_cndmask_b32_e64 v42, v129, v77, s24
	s_delay_alu instid0(VALU_DEP_4) | instskip(SKIP_1) | instid1(VALU_DEP_2)
	v_dual_cndmask_b32 v77, v117, v77, s23 :: v_dual_cndmask_b32 v14, v14, v59, s18
	v_cmp_eq_u32_e64 s18, 2, v65
	v_dual_cndmask_b32 v15, v14, v57, s19 :: v_dual_cndmask_b32 v14, v16, v44, s19
	v_cmp_eq_u32_e64 s19, 1, v65
	s_delay_alu instid0(VALU_DEP_2) | instskip(SKIP_1) | instid1(VALU_DEP_2)
	v_fmac_f64_e32 v[12:13], v[14:15], v[72:73]
	v_mul_f64_e32 v[14:15], v[68:69], v[78:79]
	v_dual_cndmask_b32 v48, v48, v12, s7 :: v_dual_cndmask_b32 v148, v10, v12, s8
	s_delay_alu instid0(VALU_DEP_2)
	v_fmac_f64_e32 v[14:15], v[70:71], v[72:73]
	v_cndmask_b32_e64 v124, v124, v12, s24
	v_cndmask_b32_e64 v108, v108, v12, s22
	v_dual_cndmask_b32 v146, v44, v12, vcc_lo :: v_dual_cndmask_b32 v147, v46, v12, s25
	v_dual_cndmask_b32 v57, v57, v13, vcc_lo :: v_dual_cndmask_b32 v59, v59, v13, s25
	v_dual_cndmask_b32 v122, v122, v12, s20 :: v_dual_cndmask_b32 v49, v49, v13, s7
	v_dual_cndmask_b32 v106, v106, v12, s21 :: v_dual_cndmask_b32 v151, v45, v13, s8
	;; [unrolled: 1-line block ×4, first 2 shown]
	v_cndmask_b32_e64 v107, v107, v13, s21
	v_dual_cndmask_b32 v111, v111, v13, s23 :: v_dual_cndmask_b32 v12, v77, v115, s19
	v_cndmask_b32_e64 v13, v76, v114, s19
	v_dual_cndmask_b32 v118, v118, v14, s22 :: v_dual_cndmask_b32 v120, v120, v14, s23
	v_dual_cndmask_b32 v149, v2, v14, s21 :: v_dual_cndmask_b32 v119, v119, v15, s22
	;; [unrolled: 1-line block ×3, first 2 shown]
	s_delay_alu instid0(VALU_DEP_3) | instskip(SKIP_2) | instid1(VALU_DEP_4)
	v_dual_cndmask_b32 v150, v3, v15, s21 :: v_dual_cndmask_b32 v3, v120, v118, s10
	v_dual_cndmask_b32 v78, v11, v15, s8 :: v_dual_cndmask_b32 v79, v130, v14, s20
	v_cndmask_b32_e64 v130, v133, v15, s24
	v_dual_cndmask_b32 v2, v121, v119, s10 :: v_dual_cndmask_b32 v10, v121, v119, s19
	s_delay_alu instid0(VALU_DEP_4) | instskip(SKIP_1) | instid1(VALU_DEP_2)
	v_dual_cndmask_b32 v11, v120, v118, s19 :: v_dual_cndmask_b32 v3, v3, v149, s17
	v_dual_cndmask_b32 v69, v47, v15, s7 :: v_dual_cndmask_b32 v68, v132, v14, s24
	;; [unrolled: 1-line block ×3, first 2 shown]
	s_delay_alu instid0(VALU_DEP_3) | instskip(SKIP_1) | instid1(VALU_DEP_3)
	v_dual_cndmask_b32 v3, v3, v79, s16 :: v_dual_cndmask_b32 v54, v54, v14, s7
	v_cndmask_b32_e64 v56, v56, v14, s8
	v_dual_cndmask_b32 v10, v10, v150, s18 :: v_dual_cndmask_b32 v11, v11, v79, s9
	s_delay_alu instid0(VALU_DEP_3) | instskip(SKIP_1) | instid1(VALU_DEP_3)
	v_dual_cndmask_b32 v2, v2, v131, s16 :: v_dual_cndmask_b32 v3, v3, v68, s11
	v_dual_cndmask_b32 v50, v50, v14, vcc_lo :: v_dual_cndmask_b32 v52, v52, v14, s25
	v_dual_cndmask_b32 v10, v10, v131, s9 :: v_dual_cndmask_b32 v11, v11, v68, s2
	s_delay_alu instid0(VALU_DEP_3) | instskip(SKIP_1) | instid1(VALU_DEP_3)
	v_dual_cndmask_b32 v2, v2, v130, s11 :: v_dual_cndmask_b32 v3, v3, v56, s12
	v_dual_cndmask_b32 v61, v61, v15, vcc_lo :: v_dual_cndmask_b32 v63, v63, v15, s25
	v_dual_cndmask_b32 v10, v10, v130, s2 :: v_dual_cndmask_b32 v11, v11, v56, s3
	s_delay_alu instid0(VALU_DEP_3) | instskip(NEXT) | instid1(VALU_DEP_4)
	v_cndmask_b32_e64 v3, v3, v54, s13
	v_cndmask_b32_e64 v2, v2, v78, s12
	s_delay_alu instid0(VALU_DEP_3) | instskip(NEXT) | instid1(VALU_DEP_3)
	v_cndmask_b32_e64 v11, v11, v54, s4
	v_dual_cndmask_b32 v10, v10, v78, s3 :: v_dual_cndmask_b32 v14, v3, v52, s14
	s_delay_alu instid0(VALU_DEP_2) | instskip(NEXT) | instid1(VALU_DEP_2)
	v_dual_cndmask_b32 v2, v2, v69, s13 :: v_dual_cndmask_b32 v15, v11, v52, s5
	v_cndmask_b32_e64 v10, v10, v69, s4
	s_delay_alu instid0(VALU_DEP_2) | instskip(NEXT) | instid1(VALU_DEP_2)
	v_cndmask_b32_e64 v2, v2, v63, s14
	v_cndmask_b32_e64 v10, v10, v63, s5
	s_delay_alu instid0(VALU_DEP_1) | instskip(NEXT) | instid1(VALU_DEP_3)
	v_dual_cndmask_b32 v11, v10, v61, s6 :: v_dual_cndmask_b32 v10, v15, v50, s6
	v_cndmask_b32_e64 v3, v2, v61, s15
	v_cndmask_b32_e64 v2, v14, v50, s15
	s_delay_alu instid0(VALU_DEP_1) | instskip(NEXT) | instid1(VALU_DEP_4)
	v_add_f64_e64 v[14:15], -v[2:3], 0
	v_add_f64_e64 v[16:17], v[10:11], -v[2:3]
	s_delay_alu instid0(VALU_DEP_1) | instskip(NEXT) | instid1(VALU_DEP_1)
	v_div_scale_f64 v[18:19], null, v[16:17], v[16:17], v[14:15]
	v_rcp_f64_e32 v[20:21], v[18:19]
	v_nop
	s_delay_alu instid0(TRANS32_DEP_1) | instskip(NEXT) | instid1(VALU_DEP_1)
	v_fma_f64 v[22:23], -v[18:19], v[20:21], 1.0
	v_fmac_f64_e32 v[20:21], v[20:21], v[22:23]
	s_delay_alu instid0(VALU_DEP_1) | instskip(NEXT) | instid1(VALU_DEP_1)
	v_fma_f64 v[22:23], -v[18:19], v[20:21], 1.0
	v_fmac_f64_e32 v[20:21], v[20:21], v[22:23]
	v_div_scale_f64 v[22:23], vcc_lo, v[14:15], v[16:17], v[14:15]
	s_delay_alu instid0(VALU_DEP_1) | instskip(NEXT) | instid1(VALU_DEP_1)
	v_mul_f64_e32 v[24:25], v[22:23], v[20:21]
	v_fma_f64 v[18:19], -v[18:19], v[24:25], v[22:23]
	v_cndmask_b32_e64 v23, v110, v108, s19
	s_delay_alu instid0(VALU_DEP_1) | instskip(NEXT) | instid1(VALU_DEP_1)
	v_cndmask_b32_e64 v23, v23, v106, s18
	v_cndmask_b32_e64 v23, v23, v122, s9
	s_delay_alu instid0(VALU_DEP_4) | instskip(SKIP_2) | instid1(VALU_DEP_2)
	v_div_fmas_f64 v[18:19], v[18:19], v[20:21], v[24:25]
	v_dual_cndmask_b32 v20, v75, v145, s10 :: v_dual_cndmask_b32 v21, v74, v139, s10
	v_cndmask_b32_e64 v25, v110, v108, s10
	v_dual_cndmask_b32 v20, v20, v144, s17 :: v_dual_cndmask_b32 v21, v21, v138, s17
	s_delay_alu instid0(VALU_DEP_1) | instskip(NEXT) | instid1(VALU_DEP_2)
	v_dual_cndmask_b32 v25, v25, v106, s17 :: v_dual_cndmask_b32 v20, v20, v143, s16
	v_cndmask_b32_e64 v21, v21, v128, s16
	v_div_fixup_f64 v[14:15], v[18:19], v[16:17], v[14:15]
	v_dual_cndmask_b32 v16, v77, v115, s10 :: v_dual_cndmask_b32 v17, v76, v114, s10
	v_dual_cndmask_b32 v18, v75, v145, s19 :: v_dual_cndmask_b32 v19, v74, v139, s19
	v_cndmask_b32_e64 v12, v12, v113, s18
	v_cndmask_b32_e64 v13, v13, v81, s18
	s_delay_alu instid0(VALU_DEP_4) | instskip(NEXT) | instid1(VALU_DEP_4)
	v_cndmask_b32_e64 v16, v16, v113, s17
	v_dual_cndmask_b32 v17, v17, v81, s17 :: v_dual_cndmask_b32 v18, v18, v144, s18
	s_delay_alu instid0(VALU_DEP_4) | instskip(NEXT) | instid1(VALU_DEP_3)
	v_dual_cndmask_b32 v19, v19, v138, s18 :: v_dual_cndmask_b32 v44, v12, v127, s9
	v_dual_cndmask_b32 v45, v13, v80, s9 :: v_dual_cndmask_b32 v16, v16, v127, s16
	s_delay_alu instid0(VALU_DEP_3) | instskip(NEXT) | instid1(VALU_DEP_4)
	v_dual_cndmask_b32 v17, v17, v80, s16 :: v_dual_cndmask_b32 v22, v111, v109, s19
	v_dual_cndmask_b32 v46, v18, v143, s9 :: v_dual_cndmask_b32 v24, v111, v109, s10
	s_delay_alu instid0(VALU_DEP_2) | instskip(NEXT) | instid1(VALU_DEP_3)
	v_dual_cndmask_b32 v16, v16, v42, s11 :: v_dual_cndmask_b32 v17, v17, v64, s11
	v_dual_cndmask_b32 v18, v20, v142, s11 :: v_dual_cndmask_b32 v22, v22, v107, s18
	;; [unrolled: 1-line block ×3, first 2 shown]
	s_delay_alu instid0(VALU_DEP_3) | instskip(NEXT) | instid1(VALU_DEP_3)
	v_dual_cndmask_b32 v16, v16, v55, s12 :: v_dual_cndmask_b32 v17, v17, v58, s12
	v_dual_cndmask_b32 v24, v24, v107, s17 :: v_dual_cndmask_b32 v18, v18, v141, s12
	s_delay_alu instid0(VALU_DEP_3) | instskip(NEXT) | instid1(VALU_DEP_3)
	v_dual_cndmask_b32 v19, v20, v116, s12 :: v_dual_cndmask_b32 v22, v22, v123, s9
	v_dual_cndmask_b32 v16, v16, v53, s13 :: v_dual_cndmask_b32 v17, v17, v60, s13
	s_delay_alu instid0(VALU_DEP_3) | instskip(SKIP_1) | instid1(VALU_DEP_3)
	v_cndmask_b32_e64 v20, v24, v123, s16
	v_add_f64_e64 v[12:13], -v[14:15], 1.0
	v_dual_cndmask_b32 v18, v18, v140, s13 :: v_dual_cndmask_b32 v16, v16, v51, s14
	s_delay_alu instid0(VALU_DEP_4) | instskip(NEXT) | instid1(VALU_DEP_2)
	v_dual_cndmask_b32 v19, v19, v112, s13 :: v_dual_cndmask_b32 v24, v17, v62, s14
	v_dual_cndmask_b32 v25, v25, v122, s16 :: v_dual_cndmask_b32 v18, v18, v27, s14
	s_delay_alu instid0(VALU_DEP_2) | instskip(NEXT) | instid1(VALU_DEP_3)
	v_dual_cndmask_b32 v17, v16, v31, s15 :: v_dual_cndmask_b32 v47, v19, v26, s14
	v_cndmask_b32_e64 v16, v24, v30, s15
	s_delay_alu instid0(VALU_DEP_3) | instskip(SKIP_1) | instid1(VALU_DEP_4)
	v_dual_cndmask_b32 v24, v44, v42, s2 :: v_dual_cndmask_b32 v19, v18, v29, s15
	v_dual_cndmask_b32 v67, v45, v64, s2 :: v_dual_cndmask_b32 v70, v46, v142, s2
	v_cndmask_b32_e64 v18, v47, v28, s15
	s_delay_alu instid0(VALU_DEP_4) | instskip(NEXT) | instid1(VALU_DEP_2)
	v_mul_f64_e32 v[44:45], v[16:17], v[12:13]
	v_dual_mul_f64 v[46:47], v[18:19], v[12:13] :: v_dual_cndmask_b32 v16, v21, v126, s2
	v_dual_cndmask_b32 v17, v20, v125, s11 :: v_dual_cndmask_b32 v18, v25, v124, s11
	v_dual_cndmask_b32 v19, v24, v55, s3 :: v_dual_cndmask_b32 v21, v70, v141, s3
	s_delay_alu instid0(VALU_DEP_3) | instskip(NEXT) | instid1(VALU_DEP_3)
	v_dual_cndmask_b32 v20, v67, v58, s3 :: v_dual_cndmask_b32 v16, v16, v116, s3
	v_dual_cndmask_b32 v17, v17, v151, s12 :: v_dual_cndmask_b32 v18, v18, v148, s12
	s_delay_alu instid0(VALU_DEP_2) | instskip(NEXT) | instid1(VALU_DEP_4)
	v_dual_cndmask_b32 v19, v19, v53, s4 :: v_dual_cndmask_b32 v20, v20, v60, s4
	v_cndmask_b32_e64 v21, v21, v140, s4
	s_delay_alu instid0(VALU_DEP_3) | instskip(NEXT) | instid1(VALU_DEP_3)
	v_dual_cndmask_b32 v17, v17, v49, s13 :: v_dual_cndmask_b32 v18, v18, v48, s13
	v_dual_cndmask_b32 v16, v16, v112, s4 :: v_dual_cndmask_b32 v19, v19, v51, s5
	s_delay_alu instid0(VALU_DEP_2)
	v_dual_cndmask_b32 v20, v20, v62, s5 :: v_dual_cndmask_b32 v24, v17, v59, s14
	ds_load_b32 v67, v137
	v_dual_cndmask_b32 v18, v18, v147, s14 :: v_dual_cndmask_b32 v25, v16, v26, s5
	v_cndmask_b32_e64 v21, v21, v27, s5
	v_dual_cndmask_b32 v17, v19, v31, s6 :: v_dual_cndmask_b32 v19, v24, v57, s15
	v_cndmask_b32_e64 v16, v20, v30, s6
	s_delay_alu instid0(VALU_DEP_3) | instskip(SKIP_1) | instid1(VALU_DEP_2)
	v_dual_cndmask_b32 v18, v18, v146, s15 :: v_dual_cndmask_b32 v21, v21, v29, s6
	v_cndmask_b32_e64 v20, v25, v28, s6
	v_mul_f64_e32 v[70:71], v[18:19], v[12:13]
	s_delay_alu instid0(VALU_DEP_4) | instskip(NEXT) | instid1(VALU_DEP_3)
	v_fmac_f64_e32 v[44:45], v[16:17], v[14:15]
	v_fmac_f64_e32 v[46:47], v[20:21], v[14:15]
	s_wait_dscnt 0x0
	v_cmp_eq_u32_e32 vcc_lo, 8, v67
	v_mul_f64_e32 v[72:73], v[2:3], v[12:13]
	v_dual_cndmask_b32 v2, v22, v125, s2 :: v_dual_cndmask_b32 v3, v23, v124, s2
	v_cmp_eq_u32_e64 s2, 7, v67
	v_cmp_eq_u32_e64 s7, 2, v67
	;; [unrolled: 1-line block ×4, first 2 shown]
	v_dual_cndmask_b32 v2, v2, v151, s3 :: v_dual_cndmask_b32 v3, v3, v148, s3
	v_cmp_eq_u32_e64 s3, 6, v67
	s_delay_alu instid0(VALU_DEP_2) | instskip(SKIP_1) | instid1(VALU_DEP_2)
	v_dual_cndmask_b32 v2, v2, v49, s4 :: v_dual_cndmask_b32 v3, v3, v48, s4
	v_cmp_eq_u32_e64 s4, 5, v67
	v_dual_cndmask_b32 v2, v2, v59, s5 :: v_dual_cndmask_b32 v31, v31, v45, vcc_lo
	s_delay_alu instid0(VALU_DEP_1)
	v_dual_cndmask_b32 v12, v3, v147, s5 :: v_dual_cndmask_b32 v3, v2, v57, s6
	v_cndmask_b32_e32 v29, v29, v47, vcc_lo
	v_cmp_eq_u32_e64 s5, 4, v67
	v_dual_cndmask_b32 v28, v28, v46, vcc_lo :: v_dual_cndmask_b32 v51, v51, v45, s2
	v_dual_cndmask_b32 v27, v27, v47, s2 :: v_dual_cndmask_b32 v26, v26, v46, s2
	v_fmac_f64_e32 v[72:73], v[10:11], v[14:15]
	v_dual_cndmask_b32 v53, v53, v45, s3 :: v_dual_cndmask_b32 v25, v140, v47, s3
	v_dual_cndmask_b32 v24, v112, v46, s3 :: v_dual_cndmask_b32 v55, v55, v45, s4
	;; [unrolled: 1-line block ×8, first 2 shown]
	v_cndmask_b32_e64 v2, v12, v146, s6
	v_cmp_eq_u32_e64 s6, 3, v67
	v_cndmask_b32_e64 v129, v42, v45, s5
	v_cndmask_b32_e64 v21, v142, v47, s5
	;; [unrolled: 1-line block ×4, first 2 shown]
	v_fmac_f64_e32 v[70:71], v[2:3], v[14:15]
	v_lshl_add_u32 v2, v67, 2, v134
	v_cndmask_b32_e64 v127, v127, v45, s6
	v_dual_cndmask_b32 v19, v143, v47, s6 :: v_dual_cndmask_b32 v18, v128, v46, s6
	v_dual_cndmask_b32 v15, v145, v47, s8 :: v_dual_cndmask_b32 v14, v139, v46, s8
	v_cndmask_b32_e64 v128, v64, v44, s5
	v_dual_cndmask_b32 v126, v80, v44, s6 :: v_dual_cndmask_b32 v112, v81, v44, s7
	v_cndmask_b32_e64 v58, v58, v44, s4
	ds_load_b32 v2, v2
	v_dual_cndmask_b32 v133, v130, v73, s5 :: v_dual_cndmask_b32 v132, v68, v72, s5
	v_dual_cndmask_b32 v131, v131, v73, s6 :: v_dual_cndmask_b32 v3, v150, v73, s7
	v_cndmask_b32_e64 v130, v79, v72, s6
	v_dual_cndmask_b32 v119, v119, v73, s8 :: v_dual_cndmask_b32 v118, v118, v72, s8
	v_dual_cndmask_b32 v121, v121, v73, s9 :: v_dual_cndmask_b32 v120, v120, v72, s9
	v_dual_mov_b32 v68, v136 :: v_dual_cndmask_b32 v30, v30, v44, vcc_lo
	v_dual_cndmask_b32 v50, v50, v72, vcc_lo :: v_dual_cndmask_b32 v63, v63, v73, s2
	v_dual_cndmask_b32 v52, v52, v72, s2 :: v_dual_cndmask_b32 v47, v69, v73, s3
	v_dual_cndmask_b32 v54, v54, v72, s3 :: v_dual_cndmask_b32 v56, v56, v72, s4
	v_dual_cndmask_b32 v11, v78, v73, s4 :: v_dual_cndmask_b32 v61, v61, v73, vcc_lo
	s_wait_dscnt 0x0
	scratch_store_b32 off, v2, off offset:12
	v_dual_cndmask_b32 v125, v125, v71, s5 :: v_dual_cndmask_b32 v124, v124, v70, s5
	v_dual_cndmask_b32 v123, v123, v71, s6 :: v_dual_cndmask_b32 v122, v122, v70, s6
	;; [unrolled: 1-line block ×5, first 2 shown]
	s_wait_xcnt 0x0
	v_cndmask_b32_e64 v2, v149, v72, s7
	v_dual_cndmask_b32 v57, v57, v71 :: v_dual_cndmask_b32 v44, v146, v70
	v_cndmask_b32_e64 v59, v59, v71, s2
	v_dual_cndmask_b32 v46, v147, v70, s2 :: v_dual_cndmask_b32 v49, v49, v71, s3
	v_dual_cndmask_b32 v48, v48, v70, s3 :: v_dual_cndmask_b32 v45, v151, v71, s4
	v_cndmask_b32_e64 v10, v148, v70, s4
.LBB2_104:
	s_or_b32 exec_lo, exec_lo, s27
	scratch_store_b32 off, v66, off offset:8
	s_wait_xcnt 0x0
	s_and_saveexec_b32 s2, s0
	s_cbranch_execz .LBB2_113
; %bb.105:
	s_mov_b32 s3, 0
	s_branch .LBB2_107
.LBB2_106:                              ;   in Loop: Header=BB2_107 Depth=1
	s_wait_xcnt 0x0
	s_or_b32 exec_lo, exec_lo, s4
	s_wait_dscnt 0x0
	v_cmp_gt_i32_e32 vcc_lo, 0, v42
	v_mov_b32_e32 v135, v42
	s_or_b32 s3, vcc_lo, s3
	s_delay_alu instid0(SALU_CYCLE_1)
	s_and_not1_b32 exec_lo, exec_lo, s3
	s_cbranch_execz .LBB2_113
.LBB2_107:                              ; =>This Inner Loop Header: Depth=1
	s_delay_alu instid0(VALU_DEP_1) | instskip(SKIP_4) | instid1(VALU_DEP_2)
	v_cmp_eq_u32_e32 vcc_lo, 1, v135
	v_cmp_eq_u32_e64 s0, 2, v135
	s_mov_b32 s4, exec_lo
	v_dual_cndmask_b32 v42, v121, v119, vcc_lo :: v_dual_cndmask_b32 v64, v120, v118, vcc_lo
	v_cmp_eq_u32_e32 vcc_lo, 3, v135
	v_dual_cndmask_b32 v42, v42, v3, s0 :: v_dual_cndmask_b32 v64, v64, v2, s0
	s_mov_b32 s0, 0
	s_delay_alu instid0(VALU_DEP_1) | instskip(SKIP_1) | instid1(VALU_DEP_2)
	v_dual_cndmask_b32 v42, v42, v131, vcc_lo :: v_dual_cndmask_b32 v64, v64, v130, vcc_lo
	v_cmp_eq_u32_e32 vcc_lo, 4, v135
	v_dual_cndmask_b32 v42, v42, v133, vcc_lo :: v_dual_cndmask_b32 v64, v64, v132, vcc_lo
	v_cmp_eq_u32_e32 vcc_lo, 5, v135
	s_delay_alu instid0(VALU_DEP_2) | instskip(SKIP_1) | instid1(VALU_DEP_2)
	v_dual_cndmask_b32 v42, v42, v11, vcc_lo :: v_dual_cndmask_b32 v64, v64, v56, vcc_lo
	v_cmp_eq_u32_e32 vcc_lo, 6, v135
	v_dual_cndmask_b32 v42, v42, v47, vcc_lo :: v_dual_cndmask_b32 v64, v64, v54, vcc_lo
	v_cmp_eq_u32_e32 vcc_lo, 7, v135
	s_delay_alu instid0(VALU_DEP_2) | instskip(SKIP_1) | instid1(VALU_DEP_2)
	v_dual_cndmask_b32 v42, v42, v63, vcc_lo :: v_dual_cndmask_b32 v64, v64, v52, vcc_lo
	v_cmp_eq_u32_e32 vcc_lo, 8, v135
	v_dual_cndmask_b32 v71, v42, v61 :: v_dual_cndmask_b32 v70, v64, v50
	v_lshl_add_u32 v64, v135, 2, v134
	ds_load_b32 v42, v64
	v_cmpx_ngt_f64_e32 0, v[70:71]
	s_xor_b32 s4, exec_lo, s4
	s_cbranch_execnz .LBB2_110
; %bb.108:                              ;   in Loop: Header=BB2_107 Depth=1
	s_or_saveexec_b32 s4, s4
	v_mov_b32_e32 v66, 8
	s_xor_b32 exec_lo, exec_lo, s4
	s_cbranch_execnz .LBB2_111
.LBB2_109:                              ;   in Loop: Header=BB2_107 Depth=1
	s_or_b32 exec_lo, exec_lo, s4
	s_and_saveexec_b32 s4, s0
	s_cbranch_execz .LBB2_106
	s_branch .LBB2_112
.LBB2_110:                              ;   in Loop: Header=BB2_107 Depth=1
	scratch_load_b32 v64, off, off offset:8
	s_wait_loadcnt 0x0
	v_cmp_eq_u32_e32 vcc_lo, -1, v64
                                        ; implicit-def: $vgpr64
	s_and_b32 s0, vcc_lo, exec_lo
	s_wait_xcnt 0x0
	s_or_saveexec_b32 s4, s4
	v_mov_b32_e32 v66, 8
	s_xor_b32 exec_lo, exec_lo, s4
	s_cbranch_execz .LBB2_109
.LBB2_111:                              ;   in Loop: Header=BB2_107 Depth=1
	scratch_load_b32 v69, off, off offset:12
	v_mov_b32_e32 v66, 12
	s_or_b32 s0, s0, exec_lo
	s_wait_loadcnt 0x0
	ds_store_b32 v64, v69
	s_wait_xcnt 0x0
	s_or_b32 exec_lo, exec_lo, s4
	s_and_saveexec_b32 s4, s0
	s_cbranch_execz .LBB2_106
.LBB2_112:                              ;   in Loop: Header=BB2_107 Depth=1
	scratch_store_b32 v66, v135, off
	s_branch .LBB2_106
.LBB2_113:
	s_or_b32 exec_lo, exec_lo, s2
	s_and_saveexec_b32 s0, s1
	s_cbranch_execz .LBB2_115
; %bb.114:
	v_max_num_f64_e32 v[2:3], v[38:39], v[38:39]
	v_max_num_f64_e32 v[38:39], v[40:41], v[40:41]
	v_lshl_add_u32 v11, v67, 2, v134
	s_delay_alu instid0(VALU_DEP_2) | instskip(SKIP_2) | instid1(VALU_DEP_3)
	v_min_num_f64_e32 v[2:3], v[38:39], v[2:3]
	v_lshl_add_u32 v39, v43, 2, v134
	v_lshl_add_u32 v38, v68, 2, v134
	v_cmp_ngt_f64_e32 vcc_lo, 0, v[2:3]
	v_cndmask_b32_e32 v2, -1, v65, vcc_lo
	ds_store_b32 v39, v68
	ds_store_b32 v38, v67
	;; [unrolled: 1-line block ×3, first 2 shown]
.LBB2_115:
	s_or_b32 exec_lo, exec_lo, s0
	scratch_load_b32 v2, off, off offset:8
	s_mov_b32 s8, exec_lo
	s_wait_loadcnt 0x0
	v_cmpx_lt_i32_e32 -1, v2
	s_cbranch_execz .LBB2_119
; %bb.116:
	v_mov_b32_e32 v3, v2
	s_mov_b32 s9, 0
.LBB2_117:                              ; =>This Inner Loop Header: Depth=1
	s_delay_alu instid0(VALU_DEP_1)
	v_cmp_eq_u32_e32 vcc_lo, 1, v3
	v_cmp_eq_u32_e64 s0, 2, v3
	v_cmp_eq_u32_e64 s1, 3, v3
	;; [unrolled: 1-line block ×4, first 2 shown]
	v_dual_cndmask_b32 v11, v117, v115 :: v_dual_cndmask_b32 v38, v116, v114
	v_cmp_eq_u32_e64 s4, 6, v3
	v_cmp_eq_u32_e64 s5, 7, v3
	;; [unrolled: 1-line block ×3, first 2 shown]
	s_delay_alu instid0(VALU_DEP_4) | instskip(SKIP_2) | instid1(VALU_DEP_3)
	v_dual_cndmask_b32 v11, v11, v113, s0 :: v_dual_cndmask_b32 v38, v38, v112, s0
	v_cmp_eq_u32_e64 s7, 0, v3
	v_lshl_add_u32 v3, v3, 2, v134
	v_dual_cndmask_b32 v40, v12, v14, vcc_lo :: v_dual_cndmask_b32 v11, v11, v127, s1
	s_delay_alu instid0(VALU_DEP_4) | instskip(SKIP_2) | instid1(VALU_DEP_1)
	v_cndmask_b32_e64 v38, v38, v126, s1
	ds_load_b32 v3, v3
	v_dual_cndmask_b32 v40, v40, v16, s0 :: v_dual_cndmask_b32 v11, v11, v129, s2
	v_dual_cndmask_b32 v38, v38, v128, s2 :: v_dual_cndmask_b32 v40, v40, v18, s1
	s_delay_alu instid0(VALU_DEP_1) | instskip(NEXT) | instid1(VALU_DEP_1)
	v_dual_cndmask_b32 v11, v11, v55, s3 :: v_dual_cndmask_b32 v38, v38, v58, s3
	v_dual_cndmask_b32 v40, v40, v20, s2 :: v_dual_cndmask_b32 v11, v11, v53, s4
	s_delay_alu instid0(VALU_DEP_1) | instskip(NEXT) | instid1(VALU_DEP_1)
	v_dual_cndmask_b32 v38, v38, v60, s4 :: v_dual_cndmask_b32 v40, v40, v22, s3
	v_dual_cndmask_b32 v11, v11, v51, s5 :: v_dual_cndmask_b32 v38, v38, v62, s5
	s_delay_alu instid0(VALU_DEP_1) | instskip(NEXT) | instid1(VALU_DEP_2)
	v_dual_cndmask_b32 v40, v40, v24, s4 :: v_dual_cndmask_b32 v39, v11, v31, s6
	v_dual_cndmask_b32 v38, v38, v30, s6 :: v_dual_cndmask_b32 v11, v13, v15, vcc_lo
	s_delay_alu instid0(VALU_DEP_2) | instskip(NEXT) | instid1(VALU_DEP_2)
	v_cndmask_b32_e64 v40, v40, v26, s5
	v_add_f64_e64 v[38:39], -v[38:39], 1.0
	s_delay_alu instid0(VALU_DEP_2) | instskip(NEXT) | instid1(VALU_DEP_1)
	v_dual_cndmask_b32 v11, v11, v17, s0 :: v_dual_cndmask_b32 v40, v40, v28, s6
	v_cndmask_b32_e64 v11, v11, v19, s1
	s_delay_alu instid0(VALU_DEP_1) | instskip(NEXT) | instid1(VALU_DEP_1)
	v_cndmask_b32_e64 v11, v11, v21, s2
	v_cndmask_b32_e64 v11, v11, v23, s3
	s_delay_alu instid0(VALU_DEP_1) | instskip(NEXT) | instid1(VALU_DEP_1)
	v_cndmask_b32_e64 v11, v11, v25, s4
	;; [unrolled: 3-line block ×3, first 2 shown]
	v_add_f64_e64 v[38:39], v[38:39], -v[40:41]
	s_delay_alu instid0(VALU_DEP_1)
	v_dual_cndmask_b32 v109, v109, v39 :: v_dual_cndmask_b32 v108, v108, v38
	s_wait_dscnt 0x0
	v_cmp_gt_i32_e32 vcc_lo, 0, v3
	v_dual_cndmask_b32 v57, v57, v39, s6 :: v_dual_cndmask_b32 v44, v44, v38, s6
	v_dual_cndmask_b32 v59, v59, v39, s5 :: v_dual_cndmask_b32 v46, v46, v38, s5
	;; [unrolled: 1-line block ×8, first 2 shown]
	s_or_b32 s9, vcc_lo, s9
	s_delay_alu instid0(SALU_CYCLE_1)
	s_and_not1_b32 exec_lo, exec_lo, s9
	s_cbranch_execnz .LBB2_117
; %bb.118:
	s_or_b32 exec_lo, exec_lo, s9
.LBB2_119:
	s_delay_alu instid0(SALU_CYCLE_1) | instskip(NEXT) | instid1(SALU_CYCLE_1)
	s_or_b32 exec_lo, exec_lo, s8
	s_mov_b32 s7, exec_lo
	v_cmpx_lt_i32_e32 -1, v2
	s_cbranch_execz .LBB2_125
; %bb.120:
	v_lshl_add_u32 v3, v2, 2, v134
	s_mov_b32 s8, exec_lo
	ds_load_b32 v42, v3
	s_wait_dscnt 0x0
	v_lshl_add_u32 v3, v42, 2, v134
	ds_load_b32 v11, v3
	s_wait_dscnt 0x0
	v_cmpx_lt_i32_e32 -1, v11
	s_cbranch_execz .LBB2_124
; %bb.121:
	v_cmp_eq_u32_e32 vcc_lo, 1, v2
	v_cmp_eq_u32_e64 s0, 2, v2
	v_cmp_eq_u32_e64 s1, 3, v2
	;; [unrolled: 1-line block ×4, first 2 shown]
	v_dual_cndmask_b32 v38, v13, v15 :: v_dual_cndmask_b32 v39, v12, v14
	v_cmp_eq_u32_e64 s4, 6, v2
	v_cmp_eq_u32_e64 s5, 7, v2
	;; [unrolled: 1-line block ×3, first 2 shown]
	s_delay_alu instid0(VALU_DEP_4) | instskip(SKIP_2) | instid1(VALU_DEP_2)
	v_dual_cndmask_b32 v38, v38, v17, s0 :: v_dual_cndmask_b32 v39, v39, v16, s0
	v_dual_cndmask_b32 v3, v117, v115 :: v_dual_cndmask_b32 v2, v116, v114
	s_mov_b32 s9, 0
	v_dual_cndmask_b32 v38, v38, v19, s1 :: v_dual_cndmask_b32 v39, v39, v18, s1
	s_delay_alu instid0(VALU_DEP_2) | instskip(SKIP_1) | instid1(VALU_DEP_3)
	v_dual_cndmask_b32 v3, v3, v113, s0 :: v_dual_cndmask_b32 v2, v2, v112, s0
	v_cndmask_b32_e32 v41, v110, v108, vcc_lo
	v_dual_cndmask_b32 v38, v38, v21, s2 :: v_dual_cndmask_b32 v39, v39, v20, s2
	s_delay_alu instid0(VALU_DEP_3) | instskip(NEXT) | instid1(VALU_DEP_2)
	v_dual_cndmask_b32 v3, v3, v127, s1 :: v_dual_cndmask_b32 v2, v2, v126, s1
	v_dual_cndmask_b32 v41, v41, v106, s0 :: v_dual_cndmask_b32 v38, v38, v23, s3
	s_delay_alu instid0(VALU_DEP_3) | instskip(NEXT) | instid1(VALU_DEP_3)
	v_cndmask_b32_e64 v39, v39, v22, s3
	v_dual_cndmask_b32 v3, v3, v129, s2 :: v_dual_cndmask_b32 v2, v2, v128, s2
	s_delay_alu instid0(VALU_DEP_3) | instskip(NEXT) | instid1(VALU_DEP_3)
	v_dual_cndmask_b32 v41, v41, v122, s1 :: v_dual_cndmask_b32 v38, v38, v25, s4
	v_cndmask_b32_e64 v39, v39, v24, s4
	s_delay_alu instid0(VALU_DEP_3) | instskip(NEXT) | instid1(VALU_DEP_3)
	v_dual_cndmask_b32 v3, v3, v55, s3 :: v_dual_cndmask_b32 v2, v2, v58, s3
	v_dual_cndmask_b32 v41, v41, v124, s2 :: v_dual_cndmask_b32 v38, v38, v27, s5
	s_delay_alu instid0(VALU_DEP_3) | instskip(NEXT) | instid1(VALU_DEP_3)
	v_cndmask_b32_e64 v40, v39, v26, s5
	v_dual_cndmask_b32 v3, v3, v53, s4 :: v_dual_cndmask_b32 v2, v2, v60, s4
	s_delay_alu instid0(VALU_DEP_3) | instskip(NEXT) | instid1(VALU_DEP_3)
	v_dual_cndmask_b32 v41, v41, v10, s3 :: v_dual_cndmask_b32 v39, v38, v29, s6
	v_dual_cndmask_b32 v38, v40, v28, s6 :: v_dual_cndmask_b32 v40, v111, v109, vcc_lo
	v_cmp_eq_u32_e32 vcc_lo, 1, v42
	s_delay_alu instid0(VALU_DEP_4) | instskip(NEXT) | instid1(VALU_DEP_3)
	v_dual_cndmask_b32 v3, v3, v51, s5 :: v_dual_cndmask_b32 v2, v2, v62, s5
	v_dual_cndmask_b32 v41, v41, v48, s4 :: v_dual_cndmask_b32 v40, v40, v107, s0
	v_cmp_eq_u32_e64 s0, 2, v42
	v_dual_cndmask_b32 v47, v117, v115 :: v_dual_cndmask_b32 v50, v116, v114
	s_delay_alu instid0(VALU_DEP_4) | instskip(NEXT) | instid1(VALU_DEP_4)
	v_dual_cndmask_b32 v3, v3, v31, s6 :: v_dual_cndmask_b32 v2, v2, v30, s6
	v_cndmask_b32_e64 v40, v40, v123, s1
	v_cmp_eq_u32_e64 s1, 3, v42
	s_delay_alu instid0(VALU_DEP_4) | instskip(NEXT) | instid1(VALU_DEP_3)
	v_dual_cndmask_b32 v47, v47, v113, s0 :: v_dual_cndmask_b32 v50, v50, v112, s0
	v_dual_cndmask_b32 v43, v41, v46, s5 :: v_dual_cndmask_b32 v40, v40, v125, s2
	v_cmp_eq_u32_e64 s2, 4, v42
	s_delay_alu instid0(VALU_DEP_3) | instskip(NEXT) | instid1(VALU_DEP_3)
	v_dual_cndmask_b32 v47, v47, v127, s1 :: v_dual_cndmask_b32 v50, v50, v126, s1
	v_cndmask_b32_e64 v40, v40, v45, s3
	v_cmp_eq_u32_e64 s3, 5, v42
	s_delay_alu instid0(VALU_DEP_3) | instskip(NEXT) | instid1(VALU_DEP_3)
	v_dual_cndmask_b32 v47, v47, v129, s2 :: v_dual_cndmask_b32 v50, v50, v128, s2
	v_cndmask_b32_e64 v40, v40, v49, s4
	;; [unrolled: 4-line block ×3, first 2 shown]
	v_cmp_eq_u32_e64 s5, 7, v42
	s_delay_alu instid0(VALU_DEP_3) | instskip(NEXT) | instid1(VALU_DEP_3)
	v_dual_cndmask_b32 v47, v47, v53, s4 :: v_dual_cndmask_b32 v50, v50, v60, s4
	v_dual_cndmask_b32 v41, v40, v57, s6 :: v_dual_cndmask_b32 v40, v43, v44, s6
	v_cndmask_b32_e32 v43, v13, v15, vcc_lo
	v_cmp_eq_u32_e64 s6, 8, v42
	s_delay_alu instid0(VALU_DEP_4) | instskip(NEXT) | instid1(VALU_DEP_3)
	v_dual_cndmask_b32 v42, v12, v14, vcc_lo :: v_dual_cndmask_b32 v47, v47, v51, s5
	v_dual_cndmask_b32 v50, v50, v62, s5 :: v_dual_cndmask_b32 v43, v43, v17, s0
	v_mul_f64_e32 v[64:65], v[2:3], v[40:41]
	s_delay_alu instid0(VALU_DEP_3) | instskip(NEXT) | instid1(VALU_DEP_3)
	v_dual_cndmask_b32 v42, v42, v16, s0 :: v_dual_cndmask_b32 v71, v47, v31, s6
	v_dual_cndmask_b32 v70, v50, v30, s6 :: v_dual_cndmask_b32 v43, v43, v19, s1
	v_dual_cndmask_b32 v47, v111, v109 :: v_dual_cndmask_b32 v50, v110, v108
	s_delay_alu instid0(VALU_DEP_3) | instskip(NEXT) | instid1(VALU_DEP_3)
	v_cndmask_b32_e64 v42, v42, v18, s1
	v_add_f64_e64 v[74:75], v[70:71], -v[2:3]
	s_delay_alu instid0(VALU_DEP_4) | instskip(NEXT) | instid1(VALU_DEP_4)
	v_cndmask_b32_e64 v43, v43, v21, s2
	v_dual_cndmask_b32 v47, v47, v107, s0 :: v_dual_cndmask_b32 v50, v50, v106, s0
	s_delay_alu instid0(VALU_DEP_4) | instskip(SKIP_1) | instid1(VALU_DEP_4)
	v_cndmask_b32_e64 v42, v42, v20, s2
	v_mul_f64_e32 v[66:67], v[38:39], v[40:41]
	v_dual_mul_f64 v[68:69], v[40:41], v[40:41] :: v_dual_cndmask_b32 v43, v43, v23, s3
	s_delay_alu instid0(VALU_DEP_4) | instskip(NEXT) | instid1(VALU_DEP_2)
	v_dual_cndmask_b32 v47, v47, v123, s1 :: v_dual_cndmask_b32 v50, v50, v122, s1
	v_dual_cndmask_b32 v42, v42, v22, s3 :: v_dual_cndmask_b32 v43, v43, v25, s4
	s_delay_alu instid0(VALU_DEP_2) | instskip(NEXT) | instid1(VALU_DEP_2)
	v_dual_cndmask_b32 v47, v47, v125, s2 :: v_dual_cndmask_b32 v50, v50, v124, s2
	v_dual_cndmask_b32 v42, v42, v24, s4 :: v_dual_cndmask_b32 v43, v43, v27, s5
	s_delay_alu instid0(VALU_DEP_2) | instskip(NEXT) | instid1(VALU_DEP_2)
	v_dual_cndmask_b32 v47, v47, v45, s3 :: v_dual_cndmask_b32 v50, v50, v10, s3
	v_dual_cndmask_b32 v42, v42, v26, s5 :: v_dual_cndmask_b32 v43, v43, v29, s6
	s_delay_alu instid0(VALU_DEP_2) | instskip(NEXT) | instid1(VALU_DEP_1)
	v_dual_cndmask_b32 v47, v47, v49, s4 :: v_dual_cndmask_b32 v50, v50, v48, s4
	v_dual_cndmask_b32 v42, v42, v28, s6 :: v_dual_cndmask_b32 v47, v47, v59, s5
	s_delay_alu instid0(VALU_DEP_2) | instskip(NEXT) | instid1(VALU_DEP_2)
	v_cndmask_b32_e64 v50, v50, v46, s5
	v_add_f64_e64 v[76:77], v[42:43], -v[38:39]
	s_delay_alu instid0(VALU_DEP_2)
	v_dual_cndmask_b32 v73, v47, v57, s6 :: v_dual_cndmask_b32 v72, v50, v44, s6
.LBB2_122:                              ; =>This Inner Loop Header: Depth=1
	v_cmp_eq_u32_e32 vcc_lo, 1, v11
	v_cmp_eq_u32_e64 s0, 2, v11
	v_cmp_eq_u32_e64 s1, 3, v11
	;; [unrolled: 1-line block ×4, first 2 shown]
	v_dual_cndmask_b32 v47, v117, v115 :: v_dual_cndmask_b32 v50, v116, v114
	v_cmp_eq_u32_e64 s4, 6, v11
	v_cmp_eq_u32_e64 s5, 7, v11
	;; [unrolled: 1-line block ×3, first 2 shown]
	s_delay_alu instid0(VALU_DEP_4) | instskip(SKIP_3) | instid1(VALU_DEP_4)
	v_dual_cndmask_b32 v47, v47, v113, s0 :: v_dual_cndmask_b32 v50, v50, v112, s0
	v_fma_f64 v[132:133], v[72:73], v[72:73], v[68:69]
	v_add_f64_e32 v[136:137], v[40:41], v[72:73]
	v_lshl_add_u32 v11, v11, 2, v134
	v_dual_cndmask_b32 v47, v47, v127, s1 :: v_dual_cndmask_b32 v50, v50, v126, s1
	ds_load_b32 v11, v11
	v_dual_cndmask_b32 v47, v47, v129, s2 :: v_dual_cndmask_b32 v50, v50, v128, s2
	s_delay_alu instid0(VALU_DEP_1) | instskip(NEXT) | instid1(VALU_DEP_1)
	v_dual_cndmask_b32 v47, v47, v55, s3 :: v_dual_cndmask_b32 v50, v50, v58, s3
	v_dual_cndmask_b32 v47, v47, v53, s4 :: v_dual_cndmask_b32 v50, v50, v60, s4
	s_delay_alu instid0(VALU_DEP_1) | instskip(NEXT) | instid1(VALU_DEP_1)
	v_dual_cndmask_b32 v47, v47, v51, s5 :: v_dual_cndmask_b32 v50, v50, v62, s5
	v_dual_cndmask_b32 v79, v47, v31, s6 :: v_dual_cndmask_b32 v78, v50, v30, s6
	v_dual_cndmask_b32 v47, v13, v15 :: v_dual_cndmask_b32 v50, v12, v14
	s_delay_alu instid0(VALU_DEP_2) | instskip(NEXT) | instid1(VALU_DEP_2)
	v_add_f64_e64 v[118:119], v[78:79], -v[2:3]
	v_dual_cndmask_b32 v47, v47, v17, s0 :: v_dual_cndmask_b32 v50, v50, v16, s0
	s_delay_alu instid0(VALU_DEP_1) | instskip(NEXT) | instid1(VALU_DEP_1)
	v_dual_cndmask_b32 v47, v47, v19, s1 :: v_dual_cndmask_b32 v50, v50, v18, s1
	v_dual_cndmask_b32 v47, v47, v21, s2 :: v_dual_cndmask_b32 v50, v50, v20, s2
	s_delay_alu instid0(VALU_DEP_1) | instskip(NEXT) | instid1(VALU_DEP_1)
	v_dual_cndmask_b32 v47, v47, v23, s3 :: v_dual_cndmask_b32 v50, v50, v22, s3
	;; [unrolled: 3-line block ×3, first 2 shown]
	v_dual_cndmask_b32 v81, v47, v29, s6 :: v_dual_cndmask_b32 v80, v50, v28, s6
	v_mul_f64_e32 v[76:77], v[118:119], v[76:77]
	v_dual_cndmask_b32 v47, v111, v109 :: v_dual_cndmask_b32 v50, v110, v108
	s_wait_dscnt 0x0
	v_cmp_gt_i32_e32 vcc_lo, 0, v11
	v_add_f64_e64 v[120:121], v[80:81], -v[38:39]
	s_delay_alu instid0(VALU_DEP_3) | instskip(SKIP_1) | instid1(VALU_DEP_1)
	v_dual_cndmask_b32 v47, v47, v107, s0 :: v_dual_cndmask_b32 v50, v50, v106, s0
	s_or_b32 s9, vcc_lo, s9
	v_dual_cndmask_b32 v47, v47, v123, s1 :: v_dual_cndmask_b32 v50, v50, v122, s1
	s_delay_alu instid0(VALU_DEP_1) | instskip(NEXT) | instid1(VALU_DEP_1)
	v_dual_cndmask_b32 v47, v47, v125, s2 :: v_dual_cndmask_b32 v50, v50, v124, s2
	v_dual_cndmask_b32 v47, v47, v45, s3 :: v_dual_cndmask_b32 v50, v50, v10, s3
	s_delay_alu instid0(VALU_DEP_1) | instskip(NEXT) | instid1(VALU_DEP_1)
	v_dual_cndmask_b32 v47, v47, v49, s4 :: v_dual_cndmask_b32 v50, v50, v48, s4
	v_dual_cndmask_b32 v47, v47, v59, s5 :: v_dual_cndmask_b32 v50, v50, v46, s5
	s_delay_alu instid0(VALU_DEP_1) | instskip(NEXT) | instid1(VALU_DEP_2)
	v_dual_fma_f64 v[74:75], v[120:121], v[74:75], -v[76:77] :: v_dual_cndmask_b32 v131, v47, v57, s6
	v_cndmask_b32_e64 v130, v50, v44, s6
	v_add_f64_e32 v[76:77], v[2:3], v[70:71]
	v_fma_f64 v[70:71], v[70:71], v[72:73], v[64:65]
	s_delay_alu instid0(VALU_DEP_3) | instskip(SKIP_1) | instid1(VALU_DEP_4)
	v_fmac_f64_e32 v[132:133], v[130:131], v[130:131]
	v_add_f64_e32 v[136:137], v[130:131], v[136:137]
	v_add_f64_e32 v[76:77], v[76:77], v[78:79]
	s_delay_alu instid0(VALU_DEP_4) | instskip(NEXT) | instid1(VALU_DEP_4)
	v_fmac_f64_e32 v[70:71], v[130:131], v[78:79]
	v_fmac_f64_e32 v[132:133], v[40:41], v[72:73]
	s_delay_alu instid0(VALU_DEP_4) | instskip(SKIP_1) | instid1(VALU_DEP_3)
	v_mul_f64_e32 v[138:139], v[136:137], v[74:75]
	v_fmac_f64_e32 v[34:35], v[136:137], v[74:75]
	v_fmac_f64_e32 v[132:133], v[40:41], v[130:131]
	s_delay_alu instid0(VALU_DEP_3) | instskip(NEXT) | instid1(VALU_DEP_2)
	v_mul_f64_e32 v[76:77], v[76:77], v[138:139]
	v_fmac_f64_e32 v[132:133], v[130:131], v[72:73]
	v_fma_f64 v[72:73], v[42:43], v[72:73], v[66:67]
	v_add_f64_e32 v[42:43], v[38:39], v[42:43]
	s_delay_alu instid0(VALU_DEP_4)
	v_fmac_f64_e32 v[76:77], v[70:71], v[74:75]
	v_mov_b64_e32 v[70:71], v[78:79]
	v_fmac_f64_e32 v[0:1], v[74:75], v[132:133]
	v_fmac_f64_e32 v[72:73], v[80:81], v[130:131]
	v_add_f64_e32 v[42:43], v[80:81], v[42:43]
	v_add_f64_e32 v[36:37], v[36:37], v[76:77]
	v_mov_b64_e32 v[76:77], v[120:121]
	s_delay_alu instid0(VALU_DEP_3) | instskip(NEXT) | instid1(VALU_DEP_1)
	v_mul_f64_e32 v[42:43], v[42:43], v[138:139]
	v_fmac_f64_e32 v[42:43], v[72:73], v[74:75]
	v_mov_b64_e32 v[74:75], v[118:119]
	v_mov_b64_e32 v[72:73], v[130:131]
	s_delay_alu instid0(VALU_DEP_3)
	v_add_f64_e32 v[32:33], v[32:33], v[42:43]
	v_mov_b64_e32 v[42:43], v[80:81]
	s_and_not1_b32 exec_lo, exec_lo, s9
	s_cbranch_execnz .LBB2_122
; %bb.123:
	s_or_b32 exec_lo, exec_lo, s9
.LBB2_124:
	s_delay_alu instid0(SALU_CYCLE_1)
	s_or_b32 exec_lo, exec_lo, s8
.LBB2_125:
	s_delay_alu instid0(SALU_CYCLE_1) | instskip(SKIP_2) | instid1(VALU_DEP_4)
	s_or_b32 exec_lo, exec_lo, s7
	v_mul_f64_e32 v[2:3], 0x3fa5555555555555, v[36:37]
	v_mul_f64_e32 v[10:11], 0x3fc5555555555555, v[34:35]
	;; [unrolled: 1-line block ×4, first 2 shown]
	s_delay_alu instid0(VALU_DEP_4) | instskip(SKIP_3) | instid1(VALU_DEP_4)
	v_mul_f64_e32 v[12:13], v[100:101], v[2:3]
	v_mul_f64_e32 v[14:15], v[102:103], v[2:3]
	;; [unrolled: 1-line block ×3, first 2 shown]
	v_fma_f64 v[24:25], v[104:105], v[10:11], 0
	v_fmac_f64_e32 v[12:13], v[86:87], v[10:11]
	s_delay_alu instid0(VALU_DEP_4) | instskip(NEXT) | instid1(VALU_DEP_4)
	v_fmac_f64_e32 v[14:15], v[8:9], v[10:11]
	v_fmac_f64_e32 v[2:3], v[4:5], v[10:11]
	s_delay_alu instid0(VALU_DEP_3) | instskip(NEXT) | instid1(VALU_DEP_3)
	v_fmac_f64_e32 v[12:13], v[96:97], v[16:17]
	v_fmac_f64_e32 v[14:15], v[94:95], v[16:17]
	s_delay_alu instid0(VALU_DEP_3) | instskip(NEXT) | instid1(VALU_DEP_3)
	v_fmac_f64_e32 v[2:3], v[92:93], v[16:17]
	v_fmac_f64_e32 v[12:13], v[6:7], v[0:1]
	s_delay_alu instid0(VALU_DEP_3) | instskip(NEXT) | instid1(VALU_DEP_3)
	v_fmac_f64_e32 v[14:15], v[88:89], v[0:1]
	v_fmac_f64_e32 v[2:3], v[90:91], v[0:1]
	s_delay_alu instid0(VALU_DEP_3) | instskip(NEXT) | instid1(VALU_DEP_3)
	v_fma_f64 v[18:19], v[104:105], v[12:13], 0
	v_fma_f64 v[22:23], v[104:105], v[14:15], 0
	s_delay_alu instid0(VALU_DEP_3)
	v_fma_f64 v[20:21], v[104:105], v[2:3], 0
.LBB2_126:
	s_or_b32 exec_lo, exec_lo, s26
	v_mul_u64_e32 v[12:13], 0x48, v[84:85]
	v_and_b32_e32 v0, 0xffffffc0, v82
	v_mov_b32_e32 v1, v83
	v_mov_b64_e32 v[4:5], 0
	v_mov_b64_e32 v[2:3], v[24:25]
	;; [unrolled: 1-line block ×7, first 2 shown]
	v_cmp_gt_i64_e32 vcc_lo, v[12:13], v[0:1]
	v_mov_b64_e32 v[12:13], v[22:23]
	s_and_saveexec_b32 s0, vcc_lo
	s_cbranch_execz .LBB2_128
; %bb.127:
	v_mov_b64_e32 v[2:3], 0
	v_mov_b64_e32 v[6:7], 0
	;; [unrolled: 1-line block ×8, first 2 shown]
.LBB2_128:
	s_or_b32 exec_lo, exec_lo, s0
	v_mbcnt_lo_u32_b32 v18, -1, 0
	s_mov_b64 s[0:1], 1
	s_wait_storecnt_dscnt 0x0
	s_barrier_signal -1
	s_barrier_wait -1
.LBB2_129:                              ; =>This Inner Loop Header: Depth=1
	v_xor_b32_e32 v19, s0, v18
	v_cmp_gt_u64_e64 s2, s[0:1], 31
	s_lshl_b64 s[0:1], s[0:1], 1
	v_cmp_gt_i32_e32 vcc_lo, 32, v19
	v_cndmask_b32_e32 v19, v18, v19, vcc_lo
	s_and_b32 vcc_lo, exec_lo, s2
	s_delay_alu instid0(VALU_DEP_1)
	v_lshlrev_b32_e32 v19, 2, v19
	ds_bpermute_b32 v28, v19, v2
	ds_bpermute_b32 v29, v19, v3
	s_wait_dscnt 0x0
	v_add_f64_e32 v[2:3], v[2:3], v[28:29]
	ds_bpermute_b32 v20, v19, v16
	ds_bpermute_b32 v21, v19, v17
	;; [unrolled: 1-line block ×14, first 2 shown]
	s_wait_dscnt 0xc
	v_add_f64_e32 v[16:17], v[16:17], v[20:21]
	s_wait_dscnt 0xa
	v_add_f64_e32 v[10:11], v[10:11], v[22:23]
	;; [unrolled: 2-line block ×7, first 2 shown]
	s_cbranch_vccz .LBB2_129
; %bb.130:
	v_dual_mov_b32 v19, 0 :: v_dual_bitop2_b32 v18, 63, v82 bitop3:0x40
	s_mov_b32 s0, exec_lo
	s_delay_alu instid0(VALU_DEP_1)
	v_cmpx_eq_u64_e32 0, v[18:19]
	s_cbranch_execz .LBB2_132
; %bb.131:
	ds_store_2addr_b64 v19, v[2:3], v[6:7] offset1:2
	ds_store_2addr_b64 v19, v[12:13], v[14:15] offset0:4 offset1:6
	ds_store_2addr_b64 v19, v[16:17], v[10:11] offset0:8 offset1:10
	;; [unrolled: 1-line block ×3, first 2 shown]
.LBB2_132:
	s_or_b32 exec_lo, exec_lo, s0
	v_cmp_gt_u64_e32 vcc_lo, 8, v[18:19]
	s_wait_dscnt 0x0
	s_barrier_signal -1
	s_barrier_wait -1
	s_and_b32 exec_lo, exec_lo, vcc_lo
	s_cbranch_execz .LBB2_134
; %bb.133:
	v_dual_lshlrev_b32 v2, 4, v18 :: v_dual_lshlrev_b32 v4, 3, v18
	v_add_nc_u64_e32 v[0:1], s[28:29], v[0:1]
	v_mov_b32_e32 v5, 0
	ds_load_b64 v[2:3], v2
	v_add_nc_u64_e32 v[0:1], v[0:1], v[4:5]
	s_wait_dscnt 0x0
	global_store_b64 v[0:1], v[2:3], off
.LBB2_134:
	s_sendmsg sendmsg(MSG_DEALLOC_VGPRS)
	s_endpgm
	.section	.rodata,"a",@progbits
	.p2align	6, 0x0
	.amdhsa_kernel _ZN8rajaperf17lambda_hip_forallILm64EZNS_4apps12INTSC_HEXHEX17runHipVariantImplILm64EEEvNS_9VariantIDEEUllE_EEvllT0_
		.amdhsa_group_segment_fixed_size 5248
		.amdhsa_private_segment_fixed_size 20
		.amdhsa_kernarg_size 48
		.amdhsa_user_sgpr_count 4
		.amdhsa_user_sgpr_dispatch_ptr 1
		.amdhsa_user_sgpr_queue_ptr 0
		.amdhsa_user_sgpr_kernarg_segment_ptr 1
		.amdhsa_user_sgpr_dispatch_id 0
		.amdhsa_user_sgpr_kernarg_preload_length 0
		.amdhsa_user_sgpr_kernarg_preload_offset 0
		.amdhsa_user_sgpr_private_segment_size 0
		.amdhsa_wavefront_size32 1
		.amdhsa_uses_dynamic_stack 0
		.amdhsa_enable_private_segment 1
		.amdhsa_system_sgpr_workgroup_id_x 1
		.amdhsa_system_sgpr_workgroup_id_y 0
		.amdhsa_system_sgpr_workgroup_id_z 0
		.amdhsa_system_sgpr_workgroup_info 0
		.amdhsa_system_vgpr_workitem_id 2
		.amdhsa_next_free_vgpr 156
		.amdhsa_next_free_sgpr 32
		.amdhsa_named_barrier_count 0
		.amdhsa_reserve_vcc 1
		.amdhsa_float_round_mode_32 0
		.amdhsa_float_round_mode_16_64 0
		.amdhsa_float_denorm_mode_32 3
		.amdhsa_float_denorm_mode_16_64 3
		.amdhsa_fp16_overflow 0
		.amdhsa_memory_ordered 1
		.amdhsa_forward_progress 1
		.amdhsa_inst_pref_size 255
		.amdhsa_round_robin_scheduling 0
		.amdhsa_exception_fp_ieee_invalid_op 0
		.amdhsa_exception_fp_denorm_src 0
		.amdhsa_exception_fp_ieee_div_zero 0
		.amdhsa_exception_fp_ieee_overflow 0
		.amdhsa_exception_fp_ieee_underflow 0
		.amdhsa_exception_fp_ieee_inexact 0
		.amdhsa_exception_int_div_zero 0
	.end_amdhsa_kernel
	.section	.text._ZN8rajaperf17lambda_hip_forallILm64EZNS_4apps12INTSC_HEXHEX17runHipVariantImplILm64EEEvNS_9VariantIDEEUllE_EEvllT0_,"axG",@progbits,_ZN8rajaperf17lambda_hip_forallILm64EZNS_4apps12INTSC_HEXHEX17runHipVariantImplILm64EEEvNS_9VariantIDEEUllE_EEvllT0_,comdat
.Lfunc_end2:
	.size	_ZN8rajaperf17lambda_hip_forallILm64EZNS_4apps12INTSC_HEXHEX17runHipVariantImplILm64EEEvNS_9VariantIDEEUllE_EEvllT0_, .Lfunc_end2-_ZN8rajaperf17lambda_hip_forallILm64EZNS_4apps12INTSC_HEXHEX17runHipVariantImplILm64EEEvNS_9VariantIDEEUllE_EEvllT0_
                                        ; -- End function
	.set _ZN8rajaperf17lambda_hip_forallILm64EZNS_4apps12INTSC_HEXHEX17runHipVariantImplILm64EEEvNS_9VariantIDEEUllE_EEvllT0_.num_vgpr, 156
	.set _ZN8rajaperf17lambda_hip_forallILm64EZNS_4apps12INTSC_HEXHEX17runHipVariantImplILm64EEEvNS_9VariantIDEEUllE_EEvllT0_.num_agpr, 0
	.set _ZN8rajaperf17lambda_hip_forallILm64EZNS_4apps12INTSC_HEXHEX17runHipVariantImplILm64EEEvNS_9VariantIDEEUllE_EEvllT0_.numbered_sgpr, 32
	.set _ZN8rajaperf17lambda_hip_forallILm64EZNS_4apps12INTSC_HEXHEX17runHipVariantImplILm64EEEvNS_9VariantIDEEUllE_EEvllT0_.num_named_barrier, 0
	.set _ZN8rajaperf17lambda_hip_forallILm64EZNS_4apps12INTSC_HEXHEX17runHipVariantImplILm64EEEvNS_9VariantIDEEUllE_EEvllT0_.private_seg_size, 20
	.set _ZN8rajaperf17lambda_hip_forallILm64EZNS_4apps12INTSC_HEXHEX17runHipVariantImplILm64EEEvNS_9VariantIDEEUllE_EEvllT0_.uses_vcc, 1
	.set _ZN8rajaperf17lambda_hip_forallILm64EZNS_4apps12INTSC_HEXHEX17runHipVariantImplILm64EEEvNS_9VariantIDEEUllE_EEvllT0_.uses_flat_scratch, 1
	.set _ZN8rajaperf17lambda_hip_forallILm64EZNS_4apps12INTSC_HEXHEX17runHipVariantImplILm64EEEvNS_9VariantIDEEUllE_EEvllT0_.has_dyn_sized_stack, 0
	.set _ZN8rajaperf17lambda_hip_forallILm64EZNS_4apps12INTSC_HEXHEX17runHipVariantImplILm64EEEvNS_9VariantIDEEUllE_EEvllT0_.has_recursion, 0
	.set _ZN8rajaperf17lambda_hip_forallILm64EZNS_4apps12INTSC_HEXHEX17runHipVariantImplILm64EEEvNS_9VariantIDEEUllE_EEvllT0_.has_indirect_call, 0
	.section	.AMDGPU.csdata,"",@progbits
; Kernel info:
; codeLenInByte = 33820
; TotalNumSgprs: 34
; NumVgprs: 156
; ScratchSize: 20
; MemoryBound: 0
; FloatMode: 240
; IeeeMode: 1
; LDSByteSize: 5248 bytes/workgroup (compile time only)
; SGPRBlocks: 0
; VGPRBlocks: 9
; NumSGPRsForWavesPerEU: 34
; NumVGPRsForWavesPerEU: 156
; NamedBarCnt: 0
; Occupancy: 6
; WaveLimiterHint : 0
; COMPUTE_PGM_RSRC2:SCRATCH_EN: 1
; COMPUTE_PGM_RSRC2:USER_SGPR: 4
; COMPUTE_PGM_RSRC2:TRAP_HANDLER: 0
; COMPUTE_PGM_RSRC2:TGID_X_EN: 1
; COMPUTE_PGM_RSRC2:TGID_Y_EN: 0
; COMPUTE_PGM_RSRC2:TGID_Z_EN: 0
; COMPUTE_PGM_RSRC2:TIDIG_COMP_CNT: 2
	.section	.text._ZN8rajaperf17lambda_hip_forallILm64EZNS_4apps12INTSC_HEXHEX17runHipVariantImplILm64EEEvNS_9VariantIDEEUllE0_EEvllT0_,"axG",@progbits,_ZN8rajaperf17lambda_hip_forallILm64EZNS_4apps12INTSC_HEXHEX17runHipVariantImplILm64EEEvNS_9VariantIDEEUllE0_EEvllT0_,comdat
	.protected	_ZN8rajaperf17lambda_hip_forallILm64EZNS_4apps12INTSC_HEXHEX17runHipVariantImplILm64EEEvNS_9VariantIDEEUllE0_EEvllT0_ ; -- Begin function _ZN8rajaperf17lambda_hip_forallILm64EZNS_4apps12INTSC_HEXHEX17runHipVariantImplILm64EEEvNS_9VariantIDEEUllE0_EEvllT0_
	.globl	_ZN8rajaperf17lambda_hip_forallILm64EZNS_4apps12INTSC_HEXHEX17runHipVariantImplILm64EEEvNS_9VariantIDEEUllE0_EEvllT0_
	.p2align	8
	.type	_ZN8rajaperf17lambda_hip_forallILm64EZNS_4apps12INTSC_HEXHEX17runHipVariantImplILm64EEEvNS_9VariantIDEEUllE0_EEvllT0_,@function
_ZN8rajaperf17lambda_hip_forallILm64EZNS_4apps12INTSC_HEXHEX17runHipVariantImplILm64EEEvNS_9VariantIDEEUllE0_EEvllT0_: ; @_ZN8rajaperf17lambda_hip_forallILm64EZNS_4apps12INTSC_HEXHEX17runHipVariantImplILm64EEEvNS_9VariantIDEEUllE0_EEvllT0_
; %bb.0:
	s_load_b128 s[4:7], s[0:1], 0x0
	s_bfe_u32 s2, ttmp6, 0x4000c
	s_and_b32 s3, ttmp6, 15
	s_add_co_i32 s2, s2, 1
	s_getreg_b32 s8, hwreg(HW_REG_IB_STS2, 6, 4)
	s_mul_i32 s2, ttmp9, s2
	v_mov_b32_e32 v1, 0
	s_add_co_i32 s2, s3, s2
	s_cmp_eq_u32 s8, 0
	s_mov_b32 s3, 0
	s_cselect_b32 s2, ttmp9, s2
	s_delay_alu instid0(SALU_CYCLE_1) | instskip(SKIP_2) | instid1(SALU_CYCLE_1)
	s_lshl_b64 s[2:3], s[2:3], 6
	s_wait_kmcnt 0x0
	s_add_nc_u64 s[2:3], s[4:5], s[2:3]
	v_add_nc_u64_e32 v[2:3], s[2:3], v[0:1]
	s_mov_b32 s2, exec_lo
	s_delay_alu instid0(VALU_DEP_1)
	v_cmpx_gt_i64_e64 s[6:7], v[2:3]
	s_cbranch_execz .LBB3_17
; %bb.1:
	s_clause 0x1
	s_load_b128 s[4:7], s[0:1], 0x10
	s_load_b64 s[2:3], s[0:1], 0x20
	v_lshlrev_b64_e32 v[6:7], 8, v[2:3]
	v_lshlrev_b64_e32 v[4:5], 3, v[2:3]
	s_wait_xcnt 0x0
	s_mov_b32 s0, exec_lo
	s_wait_kmcnt 0x0
	v_mad_nc_u64_u32 v[0:1], 0x240, v2, s[6:7]
	s_delay_alu instid0(VALU_DEP_1)
	v_mad_u32 v1, 0x240, v3, v1
	v_add_nc_u64_e32 v[2:3], s[4:5], v[6:7]
	v_cmpx_gt_u64_e64 s[2:3], v[4:5]
	s_cbranch_execz .LBB3_3
; %bb.2:
	s_clause 0x1
	global_load_b64 v[6:7], v[0:1], off
	global_load_b64 v[8:9], v[0:1], off offset:64
	s_wait_loadcnt 0x0
	v_add_f64_e32 v[6:7], v[6:7], v[8:9]
	global_store_b64 v[2:3], v[6:7], off
	s_clause 0x1
	global_load_b64 v[6:7], v[0:1], off offset:8
	global_load_b64 v[8:9], v[0:1], off offset:72
	s_wait_loadcnt 0x0
	v_add_f64_e32 v[6:7], v[6:7], v[8:9]
	global_store_b64 v[2:3], v[6:7], off offset:8
	s_clause 0x1
	global_load_b64 v[6:7], v[0:1], off offset:16
	global_load_b64 v[8:9], v[0:1], off offset:80
	s_wait_loadcnt 0x0
	v_add_f64_e32 v[6:7], v[6:7], v[8:9]
	global_store_b64 v[2:3], v[6:7], off offset:16
	;; [unrolled: 6-line block ×3, first 2 shown]
.LBB3_3:
	s_wait_xcnt 0x0
	s_or_b32 exec_lo, exec_lo, s0
	v_dual_mov_b32 v7, v5 :: v_dual_bitop2_b32 v6, 1, v4 bitop3:0x54
	s_mov_b32 s0, exec_lo
	s_delay_alu instid0(VALU_DEP_1)
	v_cmpx_gt_u64_e64 s[2:3], v[6:7]
	s_cbranch_execz .LBB3_5
; %bb.4:
	s_clause 0x1
	global_load_b64 v[6:7], v[0:1], off offset:96
	global_load_b64 v[8:9], v[0:1], off offset:128
	s_wait_loadcnt 0x0
	v_add_f64_e32 v[6:7], v[6:7], v[8:9]
	global_store_b64 v[2:3], v[6:7], off offset:32
	s_clause 0x1
	global_load_b64 v[6:7], v[0:1], off offset:104
	global_load_b64 v[8:9], v[0:1], off offset:136
	s_wait_loadcnt 0x0
	v_add_f64_e32 v[6:7], v[6:7], v[8:9]
	global_store_b64 v[2:3], v[6:7], off offset:40
	s_clause 0x1
	global_load_b64 v[6:7], v[0:1], off offset:112
	global_load_b64 v[8:9], v[0:1], off offset:144
	s_wait_loadcnt 0x0
	v_add_f64_e32 v[6:7], v[6:7], v[8:9]
	global_store_b64 v[2:3], v[6:7], off offset:48
	s_clause 0x1
	global_load_b64 v[6:7], v[0:1], off offset:120
	global_load_b64 v[8:9], v[0:1], off offset:152
	s_wait_loadcnt 0x0
	v_add_f64_e32 v[6:7], v[6:7], v[8:9]
	global_store_b64 v[2:3], v[6:7], off offset:56
.LBB3_5:
	s_wait_xcnt 0x0
	s_or_b32 exec_lo, exec_lo, s0
	v_dual_mov_b32 v7, v5 :: v_dual_bitop2_b32 v6, 2, v4 bitop3:0x54
	s_mov_b32 s0, exec_lo
	s_delay_alu instid0(VALU_DEP_1)
	v_cmpx_gt_u64_e64 s[2:3], v[6:7]
	s_cbranch_execz .LBB3_7
; %bb.6:
	s_clause 0x1
	global_load_b64 v[6:7], v[0:1], off offset:160
	global_load_b64 v[8:9], v[0:1], off offset:192
	s_wait_loadcnt 0x0
	v_add_f64_e32 v[6:7], v[6:7], v[8:9]
	global_store_b64 v[2:3], v[6:7], off offset:64
	s_clause 0x1
	global_load_b64 v[6:7], v[0:1], off offset:168
	global_load_b64 v[8:9], v[0:1], off offset:200
	s_wait_loadcnt 0x0
	v_add_f64_e32 v[6:7], v[6:7], v[8:9]
	global_store_b64 v[2:3], v[6:7], off offset:72
	s_clause 0x1
	global_load_b64 v[6:7], v[0:1], off offset:176
	global_load_b64 v[8:9], v[0:1], off offset:208
	s_wait_loadcnt 0x0
	v_add_f64_e32 v[6:7], v[6:7], v[8:9]
	global_store_b64 v[2:3], v[6:7], off offset:80
	s_clause 0x1
	global_load_b64 v[6:7], v[0:1], off offset:184
	global_load_b64 v[8:9], v[0:1], off offset:216
	s_wait_loadcnt 0x0
	v_add_f64_e32 v[6:7], v[6:7], v[8:9]
	global_store_b64 v[2:3], v[6:7], off offset:88
.LBB3_7:
	;; [unrolled: 33-line block ×6, first 2 shown]
	s_wait_xcnt 0x0
	s_or_b32 exec_lo, exec_lo, s0
	v_or_b32_e32 v4, 7, v4
	s_delay_alu instid0(VALU_DEP_1)
	v_cmp_gt_u64_e32 vcc_lo, s[2:3], v[4:5]
	s_and_b32 exec_lo, exec_lo, vcc_lo
	s_cbranch_execz .LBB3_17
; %bb.16:
	s_clause 0x1
	global_load_b64 v[4:5], v[0:1], off offset:480
	global_load_b64 v[6:7], v[0:1], off offset:512
	s_wait_loadcnt 0x0
	v_add_f64_e32 v[4:5], v[4:5], v[6:7]
	global_store_b64 v[2:3], v[4:5], off offset:224
	s_clause 0x1
	global_load_b64 v[4:5], v[0:1], off offset:488
	global_load_b64 v[6:7], v[0:1], off offset:520
	s_wait_loadcnt 0x0
	v_add_f64_e32 v[4:5], v[4:5], v[6:7]
	global_store_b64 v[2:3], v[4:5], off offset:232
	;; [unrolled: 6-line block ×4, first 2 shown]
.LBB3_17:
	s_endpgm
	.section	.rodata,"a",@progbits
	.p2align	6, 0x0
	.amdhsa_kernel _ZN8rajaperf17lambda_hip_forallILm64EZNS_4apps12INTSC_HEXHEX17runHipVariantImplILm64EEEvNS_9VariantIDEEUllE0_EEvllT0_
		.amdhsa_group_segment_fixed_size 0
		.amdhsa_private_segment_fixed_size 0
		.amdhsa_kernarg_size 40
		.amdhsa_user_sgpr_count 2
		.amdhsa_user_sgpr_dispatch_ptr 0
		.amdhsa_user_sgpr_queue_ptr 0
		.amdhsa_user_sgpr_kernarg_segment_ptr 1
		.amdhsa_user_sgpr_dispatch_id 0
		.amdhsa_user_sgpr_kernarg_preload_length 0
		.amdhsa_user_sgpr_kernarg_preload_offset 0
		.amdhsa_user_sgpr_private_segment_size 0
		.amdhsa_wavefront_size32 1
		.amdhsa_uses_dynamic_stack 0
		.amdhsa_enable_private_segment 0
		.amdhsa_system_sgpr_workgroup_id_x 1
		.amdhsa_system_sgpr_workgroup_id_y 0
		.amdhsa_system_sgpr_workgroup_id_z 0
		.amdhsa_system_sgpr_workgroup_info 0
		.amdhsa_system_vgpr_workitem_id 0
		.amdhsa_next_free_vgpr 10
		.amdhsa_next_free_sgpr 9
		.amdhsa_named_barrier_count 0
		.amdhsa_reserve_vcc 1
		.amdhsa_float_round_mode_32 0
		.amdhsa_float_round_mode_16_64 0
		.amdhsa_float_denorm_mode_32 3
		.amdhsa_float_denorm_mode_16_64 3
		.amdhsa_fp16_overflow 0
		.amdhsa_memory_ordered 1
		.amdhsa_forward_progress 1
		.amdhsa_inst_pref_size 16
		.amdhsa_round_robin_scheduling 0
		.amdhsa_exception_fp_ieee_invalid_op 0
		.amdhsa_exception_fp_denorm_src 0
		.amdhsa_exception_fp_ieee_div_zero 0
		.amdhsa_exception_fp_ieee_overflow 0
		.amdhsa_exception_fp_ieee_underflow 0
		.amdhsa_exception_fp_ieee_inexact 0
		.amdhsa_exception_int_div_zero 0
	.end_amdhsa_kernel
	.section	.text._ZN8rajaperf17lambda_hip_forallILm64EZNS_4apps12INTSC_HEXHEX17runHipVariantImplILm64EEEvNS_9VariantIDEEUllE0_EEvllT0_,"axG",@progbits,_ZN8rajaperf17lambda_hip_forallILm64EZNS_4apps12INTSC_HEXHEX17runHipVariantImplILm64EEEvNS_9VariantIDEEUllE0_EEvllT0_,comdat
.Lfunc_end3:
	.size	_ZN8rajaperf17lambda_hip_forallILm64EZNS_4apps12INTSC_HEXHEX17runHipVariantImplILm64EEEvNS_9VariantIDEEUllE0_EEvllT0_, .Lfunc_end3-_ZN8rajaperf17lambda_hip_forallILm64EZNS_4apps12INTSC_HEXHEX17runHipVariantImplILm64EEEvNS_9VariantIDEEUllE0_EEvllT0_
                                        ; -- End function
	.set _ZN8rajaperf17lambda_hip_forallILm64EZNS_4apps12INTSC_HEXHEX17runHipVariantImplILm64EEEvNS_9VariantIDEEUllE0_EEvllT0_.num_vgpr, 10
	.set _ZN8rajaperf17lambda_hip_forallILm64EZNS_4apps12INTSC_HEXHEX17runHipVariantImplILm64EEEvNS_9VariantIDEEUllE0_EEvllT0_.num_agpr, 0
	.set _ZN8rajaperf17lambda_hip_forallILm64EZNS_4apps12INTSC_HEXHEX17runHipVariantImplILm64EEEvNS_9VariantIDEEUllE0_EEvllT0_.numbered_sgpr, 9
	.set _ZN8rajaperf17lambda_hip_forallILm64EZNS_4apps12INTSC_HEXHEX17runHipVariantImplILm64EEEvNS_9VariantIDEEUllE0_EEvllT0_.num_named_barrier, 0
	.set _ZN8rajaperf17lambda_hip_forallILm64EZNS_4apps12INTSC_HEXHEX17runHipVariantImplILm64EEEvNS_9VariantIDEEUllE0_EEvllT0_.private_seg_size, 0
	.set _ZN8rajaperf17lambda_hip_forallILm64EZNS_4apps12INTSC_HEXHEX17runHipVariantImplILm64EEEvNS_9VariantIDEEUllE0_EEvllT0_.uses_vcc, 1
	.set _ZN8rajaperf17lambda_hip_forallILm64EZNS_4apps12INTSC_HEXHEX17runHipVariantImplILm64EEEvNS_9VariantIDEEUllE0_EEvllT0_.uses_flat_scratch, 0
	.set _ZN8rajaperf17lambda_hip_forallILm64EZNS_4apps12INTSC_HEXHEX17runHipVariantImplILm64EEEvNS_9VariantIDEEUllE0_EEvllT0_.has_dyn_sized_stack, 0
	.set _ZN8rajaperf17lambda_hip_forallILm64EZNS_4apps12INTSC_HEXHEX17runHipVariantImplILm64EEEvNS_9VariantIDEEUllE0_EEvllT0_.has_recursion, 0
	.set _ZN8rajaperf17lambda_hip_forallILm64EZNS_4apps12INTSC_HEXHEX17runHipVariantImplILm64EEEvNS_9VariantIDEEUllE0_EEvllT0_.has_indirect_call, 0
	.section	.AMDGPU.csdata,"",@progbits
; Kernel info:
; codeLenInByte = 1984
; TotalNumSgprs: 11
; NumVgprs: 10
; ScratchSize: 0
; MemoryBound: 1
; FloatMode: 240
; IeeeMode: 1
; LDSByteSize: 0 bytes/workgroup (compile time only)
; SGPRBlocks: 0
; VGPRBlocks: 0
; NumSGPRsForWavesPerEU: 11
; NumVGPRsForWavesPerEU: 10
; NamedBarCnt: 0
; Occupancy: 16
; WaveLimiterHint : 1
; COMPUTE_PGM_RSRC2:SCRATCH_EN: 0
; COMPUTE_PGM_RSRC2:USER_SGPR: 2
; COMPUTE_PGM_RSRC2:TRAP_HANDLER: 0
; COMPUTE_PGM_RSRC2:TGID_X_EN: 1
; COMPUTE_PGM_RSRC2:TGID_Y_EN: 0
; COMPUTE_PGM_RSRC2:TGID_Z_EN: 0
; COMPUTE_PGM_RSRC2:TIDIG_COMP_CNT: 0
	.section	.text._ZN4RAJA6policy3hip4impl18forallp_hip_kernelINS1_8hip_execINS_17iteration_mapping6DirectENS_3hip11IndexGlobalILNS_9named_dimE0ELi64ELi0EEENS7_40AvoidDeviceMaxThreadOccupancyConcretizerINS7_34FractionOffsetOccupancyConcretizerINS_8FractionImLm1ELm1EEELln1EEEEELb1EEENS_9Iterators16numeric_iteratorIllPlEEZN8rajaperf4apps12INTSC_HEXHEX17runHipVariantImplILm64EEEvNSM_9VariantIDEEUllE1_lNS_4expt15ForallParamPackIJEEES6_SA_TnNSt9enable_ifIXaasr3std10is_base_ofINS5_10DirectBaseET4_EE5valuegtsrT5_10block_sizeLi0EEmE4typeELm64EEEvT1_T0_T2_T3_,"axG",@progbits,_ZN4RAJA6policy3hip4impl18forallp_hip_kernelINS1_8hip_execINS_17iteration_mapping6DirectENS_3hip11IndexGlobalILNS_9named_dimE0ELi64ELi0EEENS7_40AvoidDeviceMaxThreadOccupancyConcretizerINS7_34FractionOffsetOccupancyConcretizerINS_8FractionImLm1ELm1EEELln1EEEEELb1EEENS_9Iterators16numeric_iteratorIllPlEEZN8rajaperf4apps12INTSC_HEXHEX17runHipVariantImplILm64EEEvNSM_9VariantIDEEUllE1_lNS_4expt15ForallParamPackIJEEES6_SA_TnNSt9enable_ifIXaasr3std10is_base_ofINS5_10DirectBaseET4_EE5valuegtsrT5_10block_sizeLi0EEmE4typeELm64EEEvT1_T0_T2_T3_,comdat
	.protected	_ZN4RAJA6policy3hip4impl18forallp_hip_kernelINS1_8hip_execINS_17iteration_mapping6DirectENS_3hip11IndexGlobalILNS_9named_dimE0ELi64ELi0EEENS7_40AvoidDeviceMaxThreadOccupancyConcretizerINS7_34FractionOffsetOccupancyConcretizerINS_8FractionImLm1ELm1EEELln1EEEEELb1EEENS_9Iterators16numeric_iteratorIllPlEEZN8rajaperf4apps12INTSC_HEXHEX17runHipVariantImplILm64EEEvNSM_9VariantIDEEUllE1_lNS_4expt15ForallParamPackIJEEES6_SA_TnNSt9enable_ifIXaasr3std10is_base_ofINS5_10DirectBaseET4_EE5valuegtsrT5_10block_sizeLi0EEmE4typeELm64EEEvT1_T0_T2_T3_ ; -- Begin function _ZN4RAJA6policy3hip4impl18forallp_hip_kernelINS1_8hip_execINS_17iteration_mapping6DirectENS_3hip11IndexGlobalILNS_9named_dimE0ELi64ELi0EEENS7_40AvoidDeviceMaxThreadOccupancyConcretizerINS7_34FractionOffsetOccupancyConcretizerINS_8FractionImLm1ELm1EEELln1EEEEELb1EEENS_9Iterators16numeric_iteratorIllPlEEZN8rajaperf4apps12INTSC_HEXHEX17runHipVariantImplILm64EEEvNSM_9VariantIDEEUllE1_lNS_4expt15ForallParamPackIJEEES6_SA_TnNSt9enable_ifIXaasr3std10is_base_ofINS5_10DirectBaseET4_EE5valuegtsrT5_10block_sizeLi0EEmE4typeELm64EEEvT1_T0_T2_T3_
	.globl	_ZN4RAJA6policy3hip4impl18forallp_hip_kernelINS1_8hip_execINS_17iteration_mapping6DirectENS_3hip11IndexGlobalILNS_9named_dimE0ELi64ELi0EEENS7_40AvoidDeviceMaxThreadOccupancyConcretizerINS7_34FractionOffsetOccupancyConcretizerINS_8FractionImLm1ELm1EEELln1EEEEELb1EEENS_9Iterators16numeric_iteratorIllPlEEZN8rajaperf4apps12INTSC_HEXHEX17runHipVariantImplILm64EEEvNSM_9VariantIDEEUllE1_lNS_4expt15ForallParamPackIJEEES6_SA_TnNSt9enable_ifIXaasr3std10is_base_ofINS5_10DirectBaseET4_EE5valuegtsrT5_10block_sizeLi0EEmE4typeELm64EEEvT1_T0_T2_T3_
	.p2align	8
	.type	_ZN4RAJA6policy3hip4impl18forallp_hip_kernelINS1_8hip_execINS_17iteration_mapping6DirectENS_3hip11IndexGlobalILNS_9named_dimE0ELi64ELi0EEENS7_40AvoidDeviceMaxThreadOccupancyConcretizerINS7_34FractionOffsetOccupancyConcretizerINS_8FractionImLm1ELm1EEELln1EEEEELb1EEENS_9Iterators16numeric_iteratorIllPlEEZN8rajaperf4apps12INTSC_HEXHEX17runHipVariantImplILm64EEEvNSM_9VariantIDEEUllE1_lNS_4expt15ForallParamPackIJEEES6_SA_TnNSt9enable_ifIXaasr3std10is_base_ofINS5_10DirectBaseET4_EE5valuegtsrT5_10block_sizeLi0EEmE4typeELm64EEEvT1_T0_T2_T3_,@function
_ZN4RAJA6policy3hip4impl18forallp_hip_kernelINS1_8hip_execINS_17iteration_mapping6DirectENS_3hip11IndexGlobalILNS_9named_dimE0ELi64ELi0EEENS7_40AvoidDeviceMaxThreadOccupancyConcretizerINS7_34FractionOffsetOccupancyConcretizerINS_8FractionImLm1ELm1EEELln1EEEEELb1EEENS_9Iterators16numeric_iteratorIllPlEEZN8rajaperf4apps12INTSC_HEXHEX17runHipVariantImplILm64EEEvNSM_9VariantIDEEUllE1_lNS_4expt15ForallParamPackIJEEES6_SA_TnNSt9enable_ifIXaasr3std10is_base_ofINS5_10DirectBaseET4_EE5valuegtsrT5_10block_sizeLi0EEmE4typeELm64EEEvT1_T0_T2_T3_: ; @_ZN4RAJA6policy3hip4impl18forallp_hip_kernelINS1_8hip_execINS_17iteration_mapping6DirectENS_3hip11IndexGlobalILNS_9named_dimE0ELi64ELi0EEENS7_40AvoidDeviceMaxThreadOccupancyConcretizerINS7_34FractionOffsetOccupancyConcretizerINS_8FractionImLm1ELm1EEELln1EEEEELb1EEENS_9Iterators16numeric_iteratorIllPlEEZN8rajaperf4apps12INTSC_HEXHEX17runHipVariantImplILm64EEEvNSM_9VariantIDEEUllE1_lNS_4expt15ForallParamPackIJEEES6_SA_TnNSt9enable_ifIXaasr3std10is_base_ofINS5_10DirectBaseET4_EE5valuegtsrT5_10block_sizeLi0EEmE4typeELm64EEEvT1_T0_T2_T3_
; %bb.0:
	s_load_b256 s[4:11], s[2:3], 0x10
	s_bfe_u32 s12, ttmp6, 0x4000c
	s_and_b32 s13, ttmp6, 15
	s_add_co_i32 s12, s12, 1
	s_getreg_b32 s14, hwreg(HW_REG_IB_STS2, 6, 4)
	s_mul_i32 s12, ttmp9, s12
	v_and_b32_e32 v1, 0x3ff, v0
	s_add_co_i32 s12, s13, s12
	s_cmp_eq_u32 s14, 0
	s_mov_b32 s13, 0
	s_cselect_b32 s12, ttmp9, s12
	s_delay_alu instid0(SALU_CYCLE_1) | instskip(NEXT) | instid1(SALU_CYCLE_1)
	s_lshl_b64 s[12:13], s[12:13], 6
	v_dual_mov_b32 v3, s13 :: v_dual_bitop2_b32 v2, s12, v1 bitop3:0x54
	s_wait_kmcnt 0x0
	s_delay_alu instid0(VALU_DEP_1)
	v_cmp_gt_i64_e32 vcc_lo, s[10:11], v[2:3]
	s_and_saveexec_b32 s10, vcc_lo
	s_cbranch_execz .LBB4_134
; %bb.1:
	v_add_nc_u64_e32 v[82:83], s[8:9], v[2:3]
	v_mov_b32_e32 v3, 0
	s_load_b128 s[28:31], s[2:3], 0x0
	v_mov_b64_e32 v[20:21], 0
	v_mov_b64_e32 v[22:23], 0
	;; [unrolled: 1-line block ×4, first 2 shown]
	v_mov_b32_e32 v2, v82
	s_mov_b32 s26, exec_lo
	v_mov_b32_e32 v11, v3
	s_delay_alu instid0(VALU_DEP_2) | instskip(NEXT) | instid1(VALU_DEP_1)
	v_mul_u64_e32 v[4:5], 0x38e38e39, v[2:3]
	v_dual_mov_b32 v7, v3 :: v_dual_mov_b32 v6, v5
	s_delay_alu instid0(VALU_DEP_1) | instskip(NEXT) | instid1(VALU_DEP_1)
	v_mad_nc_u64_u32 v[4:5], 0x38e38e39, v83, v[6:7]
	v_dual_mov_b32 v6, v5 :: v_dual_mov_b32 v5, v3
	s_delay_alu instid0(VALU_DEP_1) | instskip(NEXT) | instid1(VALU_DEP_1)
	v_mad_nc_u64_u32 v[4:5], 0xe38e38e, v82, v[4:5]
	v_dual_mov_b32 v9, v3 :: v_dual_mov_b32 v8, v5
	s_delay_alu instid0(VALU_DEP_1) | instskip(NEXT) | instid1(VALU_DEP_1)
	v_add_nc_u64_e32 v[4:5], v[6:7], v[8:9]
	v_mad_nc_u64_u32 v[6:7], 0xe38e38e, v83, v[4:5]
	v_ashrrev_i32_e32 v4, 31, v83
	s_delay_alu instid0(VALU_DEP_1) | instskip(NEXT) | instid1(VALU_DEP_1)
	v_mad_nc_u64_u32 v[6:7], 0x38e38e39, v4, v[6:7]
	v_mad_u32 v5, 0x38e38e39, v4, v7
	s_delay_alu instid0(VALU_DEP_1) | instskip(NEXT) | instid1(VALU_DEP_1)
	v_mad_u32 v7, 0xe38e38e, v4, v5
	v_ashrrev_i64 v[8:9], 2, v[6:7]
	v_lshrrev_b32_e32 v10, 31, v7
	s_delay_alu instid0(VALU_DEP_1) | instskip(SKIP_1) | instid1(VALU_DEP_1)
	v_add_nc_u64_e32 v[84:85], v[8:9], v[10:11]
	s_wait_kmcnt 0x0
	v_cmpx_gt_u64_e64 s[30:31], v[84:85]
	s_cbranch_execz .LBB4_126
; %bb.2:
	s_mov_b64 s[2:3], 0xaaaaaaab
                                        ; implicit-def: $vgpr14_vgpr15
                                        ; implicit-def: $vgpr12_vgpr13
	v_mov_b32_e32 v9, v3
	v_mul_u64_e32 v[6:7], s[2:3], v[2:3]
	s_delay_alu instid0(VALU_DEP_1) | instskip(NEXT) | instid1(VALU_DEP_1)
	v_mov_b32_e32 v2, v7
	v_mad_nc_u64_u32 v[6:7], 0xaaaaaaab, v83, v[2:3]
	s_delay_alu instid0(VALU_DEP_1) | instskip(NEXT) | instid1(VALU_DEP_1)
	v_dual_mov_b32 v2, v7 :: v_dual_mov_b32 v7, v3
	v_mad_nc_u64_u32 v[6:7], 0x2aaaaaaa, v82, v[6:7]
	s_delay_alu instid0(VALU_DEP_1) | instskip(NEXT) | instid1(VALU_DEP_1)
	v_mov_b32_e32 v8, v7
	v_add_nc_u64_e32 v[6:7], v[2:3], v[8:9]
	s_delay_alu instid0(VALU_DEP_1) | instskip(NEXT) | instid1(VALU_DEP_1)
	v_mad_nc_u64_u32 v[6:7], 0x2aaaaaaa, v83, v[6:7]
	v_mad_nc_u64_u32 v[6:7], 0xaaaaaaab, v4, v[6:7]
	s_delay_alu instid0(VALU_DEP_1) | instskip(NEXT) | instid1(VALU_DEP_1)
	v_mad_u32 v2, 0xaaaaaaab, v4, v7
	v_mad_u32 v7, 0x2aaaaaaa, v4, v2
	s_delay_alu instid0(VALU_DEP_1) | instskip(NEXT) | instid1(VALU_DEP_1)
	v_lshrrev_b32_e32 v2, 31, v7
	v_add_nc_u64_e32 v[4:5], v[6:7], v[2:3]
	s_delay_alu instid0(VALU_DEP_1) | instskip(NEXT) | instid1(VALU_DEP_1)
	v_mov_b32_e32 v2, v4
	v_mul_u64_e32 v[6:7], s[2:3], v[2:3]
	s_mov_b32 s2, exec_lo
	s_delay_alu instid0(VALU_DEP_1) | instskip(NEXT) | instid1(VALU_DEP_1)
	v_mov_b32_e32 v2, v7
	v_mad_nc_u64_u32 v[6:7], 0xaaaaaaab, v5, v[2:3]
	s_delay_alu instid0(VALU_DEP_1) | instskip(NEXT) | instid1(VALU_DEP_1)
	v_dual_mov_b32 v2, v7 :: v_dual_mov_b32 v7, v3
	v_mad_nc_u64_u32 v[6:7], 0x2aaaaaaa, v4, v[6:7]
	s_delay_alu instid0(VALU_DEP_1) | instskip(NEXT) | instid1(VALU_DEP_1)
	v_dual_mov_b32 v6, v7 :: v_dual_mov_b32 v7, v3
	v_add_nc_u64_e32 v[6:7], v[2:3], v[6:7]
	v_ashrrev_i32_e32 v2, 31, v5
	s_delay_alu instid0(VALU_DEP_2) | instskip(NEXT) | instid1(VALU_DEP_1)
	v_mad_nc_u64_u32 v[6:7], 0x2aaaaaaa, v5, v[6:7]
	v_mad_nc_u64_u32 v[6:7], 0xaaaaaaab, v2, v[6:7]
	s_delay_alu instid0(VALU_DEP_1) | instskip(NEXT) | instid1(VALU_DEP_1)
	v_mad_u32 v7, 0xaaaaaaab, v2, v7
	v_mad_u32 v7, 0x2aaaaaaa, v2, v7
	s_delay_alu instid0(VALU_DEP_1) | instskip(SKIP_1) | instid1(VALU_DEP_1)
	v_lshrrev_b64 v[8:9], 1, v[6:7]
	v_lshrrev_b32_e32 v2, 31, v7
	v_add_nc_u64_e32 v[2:3], v[8:9], v[2:3]
	s_delay_alu instid0(VALU_DEP_1) | instskip(NEXT) | instid1(VALU_DEP_1)
	v_mul_u64_e32 v[2:3], 12, v[2:3]
	v_sub_nc_u64_e32 v[2:3], v[4:5], v[2:3]
	s_delay_alu instid0(VALU_DEP_1)
	v_cmpx_lt_i64_e32 5, v[2:3]
	s_xor_b32 s2, exec_lo, s2
; %bb.3:
	v_lshlrev_b64_e32 v[6:7], 2, v[2:3]
	s_get_pc_i64 s[8:9]
	s_add_nc_u64 s[8:9], s[8:9], __const._ZN8rajaperf14hex_intsc_subzEPKdS1_iiRdS2_S2_S2_.cyc_nod@rel64+48
	v_sub_nc_u64_e32 v[14:15], 12, v[2:3]
                                        ; implicit-def: $vgpr2_vgpr3
	s_delay_alu instid0(VALU_DEP_2)
	v_sub_nc_u64_e32 v[12:13], s[8:9], v[6:7]
; %bb.4:
	s_or_saveexec_b32 s2, s2
	v_mov_b64_e32 v[10:11], 7
	s_xor_b32 exec_lo, exec_lo, s2
; %bb.5:
	s_get_pc_i64 s[8:9]
	s_add_nc_u64 s[8:9], s[8:9], __const._ZN8rajaperf14hex_intsc_subzEPKdS1_iiRdS2_S2_S2_.cyc_nod@rel64+8
	v_mov_b64_e32 v[10:11], 0
	v_mov_b64_e32 v[14:15], v[2:3]
	v_lshl_add_u64 v[12:13], v[2:3], 2, s[8:9]
; %bb.6:
	s_or_b32 exec_lo, exec_lo, s2
	v_mul_u64_e32 v[2:3], 6, v[4:5]
	s_get_pc_i64 s[2:3]
	s_add_nc_u64 s[2:3], s[2:3], __const._ZN8rajaperf14hex_intsc_subzEPKdS1_iiRdS2_S2_S2_.vert_cyc@rel64+4
	v_mul_lo_u32 v11, 0xc0, v85
	v_mad_nc_u64_u32 v[18:19], 0xc0, v84, s[6:7]
	s_mov_b64 s[6:7], 0x4ffffffff
                                        ; implicit-def: $sgpr8
	v_dual_mov_b32 v135, -1 :: v_dual_mov_b32 v138, -1
	v_dual_mov_b32 v137, -1 :: v_dual_mov_b32 v140, -1
	s_delay_alu instid0(VALU_DEP_3) | instskip(SKIP_1) | instid1(VALU_DEP_1)
	v_add_nc_u32_e32 v19, v11, v19
	v_sub_nc_u64_e32 v[2:3], v[82:83], v[2:3]
	v_add_nc_u16 v4, v2, 1
	s_delay_alu instid0(VALU_DEP_2) | instskip(NEXT) | instid1(VALU_DEP_2)
	v_lshl_add_u64 v[2:3], v[2:3], 2, s[2:3]
	v_bfe_i32 v5, v4, 0, 8
	global_load_b32 v2, v[2:3], off
	v_mul_lo_u16 v5, v5, 43
	s_delay_alu instid0(VALU_DEP_1) | instskip(SKIP_2) | instid1(VALU_DEP_1)
	v_lshrrev_b16 v6, 15, v5
	v_lshrrev_b16 v5, 8, v5
	s_wait_xcnt 0x0
	v_add_nc_u16 v3, v5, v6
	s_delay_alu instid0(VALU_DEP_1) | instskip(NEXT) | instid1(VALU_DEP_1)
	v_mul_lo_u16 v3, v3, 6
	v_sub_nc_u16 v3, v4, v3
	s_delay_alu instid0(VALU_DEP_1) | instskip(NEXT) | instid1(VALU_DEP_1)
	v_bfe_i32 v4, v3, 0, 8
	v_ashrrev_i32_e32 v5, 31, v4
	s_delay_alu instid0(VALU_DEP_1) | instskip(SKIP_2) | instid1(SALU_CYCLE_1)
	v_lshl_add_u64 v[4:5], v[4:5], 2, s[2:3]
	s_get_pc_i64 s[2:3]
	s_add_nc_u64 s[2:3], s[2:3], __const._ZN8rajaperf14hex_intsc_subzEPKdS1_iiRdS2_S2_S2_.cyc_nod@rel64+4
	v_lshl_add_u64 v[14:15], v[14:15], 2, s[2:3]
	s_load_b64 s[2:3], s[0:1], 0x4
	global_load_b32 v16, v[4:5], off
	s_wait_kmcnt 0x0
	s_lshr_b32 s0, s2, 16
	s_delay_alu instid0(SALU_CYCLE_1) | instskip(SKIP_2) | instid1(VALU_DEP_1)
	s_mul_i32 s0, s0, s3
	s_wait_loadcnt 0x0
	v_dual_ashrrev_i32 v3, 31, v2 :: v_dual_ashrrev_i32 v17, 31, v16
	v_lshl_add_u64 v[20:21], v[2:3], 3, v[18:19]
	s_clause 0x3
	global_load_b64 v[86:87], v[18:19], off
	global_load_b128 v[6:9], v[18:19], off offset:56
	global_load_b128 v[2:5], v[18:19], off offset:120
	global_load_b64 v[22:23], v[20:21], off
	v_lshl_add_u64 v[16:17], v[16:17], 3, v[18:19]
	s_clause 0x5
	global_load_b64 v[24:25], v[16:17], off offset:64
	global_load_b64 v[26:27], v[16:17], off offset:128
	;; [unrolled: 1-line block ×3, first 2 shown]
	global_load_b64 v[30:31], v[16:17], off
	global_load_b64 v[32:33], v[20:21], off offset:64
	global_load_b64 v[34:35], v[20:21], off offset:128
	global_load_b32 v16, v[14:15], off
	global_load_b32 v20, v[12:13], off
	v_dual_mov_b32 v19, 0 :: v_dual_lshlrev_b32 v18, 3, v10
	s_wait_loadcnt 0xa
	v_add_f64_e64 v[6:7], v[6:7], -v[86:87]
	s_wait_loadcnt 0x9
	v_add_f64_e64 v[88:89], v[2:3], -v[8:9]
	;; [unrolled: 2-line block ×5, first 2 shown]
	v_mad_nc_u64_u32 v[26:27], 0xc0, v84, s[4:5]
	s_wait_loadcnt 0x5
	v_add_f64_e64 v[90:91], v[28:29], -v[4:5]
	s_wait_loadcnt 0x1
	v_dual_add_f64 v[96:97], v[30:31], -v[86:87] :: v_dual_ashrrev_i32 v17, 31, v16
	v_add_f64_e64 v[102:103], v[32:33], -v[8:9]
	v_add_f64_e64 v[98:99], v[34:35], -v[4:5]
	s_wait_loadcnt 0x0
	v_ashrrev_i32_e32 v21, 31, v20
	s_mov_b64 s[4:5], 0x600000005
	v_add_nc_u32_e32 v27, v11, v27
	s_delay_alu instid0(VALU_DEP_1)
	v_add_nc_u64_e32 v[10:11], v[26:27], v[18:19]
	v_lshl_add_u64 v[16:17], v[16:17], 3, v[26:27]
	v_lshl_add_u64 v[20:21], v[20:21], 3, v[26:27]
	v_bfe_u32 v18, v0, 20, 10
	v_mul_f64_e32 v[2:3], v[100:101], v[88:89]
	v_mul_f64_e32 v[12:13], v[100:101], v[94:95]
	;; [unrolled: 1-line block ×8, first 2 shown]
	v_fma_f64 v[2:3], v[102:103], v[6:7], -v[2:3]
	s_delay_alu instid0(VALU_DEP_4) | instskip(NEXT) | instid1(VALU_DEP_3)
	v_fma_f64 v[50:51], v[100:101], v[90:91], -v[50:51]
	v_fma_f64 v[24:25], v[12:13], v[90:91], -v[14:15]
	v_mul_f64_e32 v[14:15], v[102:103], v[96:97]
	s_delay_alu instid0(VALU_DEP_2)
	v_fmac_f64_e32 v[24:25], v[98:99], v[22:23]
	s_clause 0x6
	global_load_b64 v[22:23], v[10:11], off offset:64
	global_load_b64 v[26:27], v[16:17], off offset:64
	;; [unrolled: 1-line block ×4, first 2 shown]
	global_load_b64 v[32:33], v[16:17], off
	global_load_b64 v[36:37], v[10:11], off
	;; [unrolled: 1-line block ×3, first 2 shown]
	s_wait_xcnt 0x1
	v_mul_f64_e32 v[10:11], v[94:95], v[6:7]
	s_clause 0x1
	global_load_b64 v[40:41], v[20:21], off offset:128
	global_load_b64 v[42:43], v[16:17], off offset:128
	v_fma_f64 v[24:25], -v[14:15], v[90:91], v[24:25]
	s_delay_alu instid0(VALU_DEP_1) | instskip(SKIP_1) | instid1(VALU_DEP_2)
	v_fmac_f64_e32 v[24:25], v[92:93], v[30:31]
	v_mul_f64_e32 v[30:31], v[96:97], v[90:91]
	v_fma_f64 v[104:105], -v[98:99], v[10:11], v[24:25]
	s_delay_alu instid0(VALU_DEP_2) | instskip(SKIP_1) | instid1(VALU_DEP_2)
	v_fma_f64 v[54:55], v[92:93], v[6:7], -v[30:31]
	s_wait_xcnt 0x0
	v_fmaak_f64 v[16:17], v[104:105], v[104:105], 0x2b2bff2ee48e0530
	s_delay_alu instid0(VALU_DEP_1) | instskip(SKIP_1) | instid1(VALU_DEP_2)
	v_div_scale_f64 v[44:45], null, v[16:17], v[16:17], v[104:105]
	v_div_scale_f64 v[48:49], vcc_lo, v[104:105], v[16:17], v[104:105]
	v_rcp_f64_e32 v[46:47], v[44:45]
	v_nop
	s_delay_alu instid0(TRANS32_DEP_1) | instskip(NEXT) | instid1(VALU_DEP_1)
	v_fma_f64 v[20:21], -v[44:45], v[46:47], 1.0
	v_fmac_f64_e32 v[46:47], v[46:47], v[20:21]
	s_delay_alu instid0(VALU_DEP_1) | instskip(NEXT) | instid1(VALU_DEP_1)
	v_fma_f64 v[20:21], -v[44:45], v[46:47], 1.0
	v_fmac_f64_e32 v[46:47], v[46:47], v[20:21]
	s_wait_loadcnt 0x5
	v_add_f64_e64 v[34:35], v[34:35], -v[4:5]
	v_add_f64_e64 v[24:25], v[22:23], -v[8:9]
	;; [unrolled: 1-line block ×4, first 2 shown]
	s_wait_loadcnt 0x3
	v_add_f64_e64 v[20:21], v[36:37], -v[86:87]
	v_add_f64_e64 v[26:27], v[32:33], -v[86:87]
	s_wait_loadcnt 0x2
	v_add_f64_e64 v[32:33], v[38:39], -v[86:87]
	s_wait_loadcnt 0x1
	;; [unrolled: 2-line block ×3, first 2 shown]
	v_add_f64_e64 v[36:37], v[42:43], -v[4:5]
	v_fma_f64 v[40:41], v[98:99], v[88:89], -v[58:59]
	v_fma_f64 v[42:43], v[96:97], v[88:89], -v[10:11]
	v_mul_f64_e32 v[56:57], v[48:49], v[46:47]
	v_mul_f64_e32 v[60:61], v[24:25], v[54:55]
	;; [unrolled: 1-line block ×4, first 2 shown]
	s_delay_alu instid0(VALU_DEP_4) | instskip(SKIP_3) | instid1(VALU_DEP_4)
	v_fma_f64 v[44:45], -v[44:45], v[56:57], v[48:49]
	v_mul_f64_e32 v[48:49], v[30:31], v[54:55]
	v_mul_f64_e32 v[54:55], v[24:25], v[50:51]
	v_fmac_f64_e32 v[58:59], v[26:27], v[40:41]
	v_div_fmas_f64 v[10:11], v[44:45], v[46:47], v[56:57]
	v_mul_f64_e32 v[44:45], v[22:23], v[50:51]
	s_delay_alu instid0(VALU_DEP_4)
	v_fmac_f64_e32 v[54:55], v[20:21], v[40:41]
	v_mul_u32_u24_e32 v47, s0, v1
	s_mov_b64 s[0:1], 0x200000001
	v_fmac_f64_e32 v[58:59], v[36:37], v[2:3]
	v_div_fixup_f64 v[10:11], v[10:11], v[16:17], v[104:105]
	v_fmac_f64_e32 v[44:45], v[32:33], v[40:41]
	v_fmac_f64_e32 v[54:55], v[34:35], v[2:3]
	s_delay_alu instid0(VALU_DEP_3) | instskip(NEXT) | instid1(VALU_DEP_3)
	v_mul_f64_e32 v[66:67], v[58:59], v[10:11]
	v_fmac_f64_e32 v[44:45], v[28:29], v[2:3]
	v_bfe_u32 v2, v0, 10, 10
	s_delay_alu instid0(VALU_DEP_4) | instskip(NEXT) | instid1(VALU_DEP_2)
	v_mul_f64_e32 v[64:65], v[54:55], v[10:11]
	v_mul_u32_u24_e32 v46, s3, v2
	s_mov_b64 s[2:3], 0x800000007
	s_delay_alu instid0(VALU_DEP_1) | instskip(SKIP_1) | instid1(VALU_DEP_2)
	v_add3_u32 v18, v47, v46, v18
	v_dual_fma_f64 v[52:53], v[94:95], v[90:91], -v[52:53] :: v_dual_mov_b32 v46, 3
	v_mul_lo_u32 v18, 0x50, v18
	s_delay_alu instid0(VALU_DEP_1) | instskip(SKIP_1) | instid1(VALU_DEP_4)
	v_add_nc_u32_e32 v134, 0x80, v18
	v_mul_f64_e32 v[68:69], v[44:45], v[10:11]
	v_fmac_f64_e32 v[60:61], v[20:21], v[52:53]
	v_fmac_f64_e32 v[48:49], v[26:27], v[52:53]
	;; [unrolled: 1-line block ×3, first 2 shown]
	s_delay_alu instid0(VALU_DEP_3) | instskip(NEXT) | instid1(VALU_DEP_3)
	v_fmac_f64_e32 v[60:61], v[34:35], v[42:43]
	v_fmac_f64_e32 v[48:49], v[36:37], v[42:43]
	s_delay_alu instid0(VALU_DEP_3) | instskip(NEXT) | instid1(VALU_DEP_3)
	v_fmac_f64_e32 v[38:39], v[28:29], v[42:43]
	v_fma_f64 v[16:17], -v[60:61], v[10:11], 1.0
	s_delay_alu instid0(VALU_DEP_3) | instskip(NEXT) | instid1(VALU_DEP_3)
	v_fma_f64 v[40:41], -v[48:49], v[10:11], 1.0
	v_fma_f64 v[42:43], -v[38:39], v[10:11], 1.0
	v_mul_f64_e32 v[116:117], v[60:61], v[10:11]
	v_mul_f64_e32 v[114:115], v[48:49], v[10:11]
	;; [unrolled: 1-line block ×3, first 2 shown]
	v_mov_b64_e32 v[38:39], s[0:1]
	v_fma_f64 v[0:1], -v[54:55], v[10:11], v[16:17]
	v_fma_f64 v[2:3], -v[58:59], v[10:11], v[40:41]
	;; [unrolled: 1-line block ×3, first 2 shown]
	v_mov_b64_e32 v[40:41], s[6:7]
	v_mov_b64_e32 v[42:43], s[4:5]
	;; [unrolled: 1-line block ×3, first 2 shown]
	ds_store_2addr_b64 v18, v[38:39], v[40:41] offset0:21 offset1:22
	ds_store_2addr_b64 v18, v[42:43], v[44:45] offset0:23 offset1:24
	s_mov_b32 s4, 0
	scratch_store_b32 off, v46, off offset:4
	ds_store_b32 v18, v135 offset:200
	ds_store_b128 v18, v[0:3] offset:128
	ds_store_b64 v18, v[16:17] offset:144
	v_mov_b64_e32 v[38:39], v[0:1]
.LBB4_7:                                ; =>This Inner Loop Header: Depth=1
	v_lshl_add_u32 v18, v19, 2, v134
	s_delay_alu instid0(VALU_DEP_2)
	v_cmp_le_f64_e32 vcc_lo, 0, v[38:39]
	v_cmp_gt_f64_e64 s1, 0, v[38:39]
	v_mov_b32_e32 v136, v137
	ds_load_b32 v18, v18 offset:40
	s_wait_dscnt 0x0
	v_max_i32_e32 v42, 0, v18
	v_cmp_gt_i32_e64 s3, 0, v18
	s_delay_alu instid0(VALU_DEP_2)
	v_lshl_add_u32 v40, v42, 3, v134
	ds_load_b64 v[40:41], v40
	s_wait_dscnt 0x0
	v_cmp_gt_f64_e64 s0, 0, v[40:41]
	v_cmp_le_f64_e64 s2, 0, v[40:41]
	v_mov_b64_e32 v[38:39], v[40:41]
	s_and_b32 vcc_lo, vcc_lo, s0
	s_and_b32 s0, s1, s2
	v_dual_cndmask_b32 v140, v140, v42 :: v_dual_cndmask_b32 v135, v135, v19
	v_dual_cndmask_b32 v137, v136, v42, s0 :: v_dual_cndmask_b32 v138, v138, v19, s0
	s_or_b32 s4, s3, s4
	v_mov_b32_e32 v19, v18
	s_and_not1_b32 s0, s8, exec_lo
	s_and_b32 s1, s1, exec_lo
	s_delay_alu instid0(SALU_CYCLE_1)
	s_or_b32 s8, s0, s1
	s_wait_xcnt 0x0
	s_and_not1_b32 exec_lo, exec_lo, s4
	s_cbranch_execnz .LBB4_7
; %bb.8:
	s_or_b32 exec_lo, exec_lo, s4
	v_dual_mul_f64 v[18:19], v[100:101], v[92:93] :: v_dual_mov_b32 v70, 0
	v_dual_mul_f64 v[38:39], v[98:99], v[94:95] :: v_dual_mov_b32 v139, -1
	v_add_f64_e64 v[12:13], v[12:13], -v[14:15]
	v_cmp_lt_i32_e64 s0, -1, v135
	s_delay_alu instid0(VALU_DEP_4)
	v_dual_mov_b32 v72, v70 :: v_dual_mov_b32 v73, v70
	v_dual_mov_b32 v74, v70 :: v_dual_mov_b32 v75, v70
	;; [unrolled: 1-line block ×13, first 2 shown]
	v_mov_b32_e32 v44, v70
	v_dual_fma_f64 v[18:19], v[98:99], v[96:97], -v[18:19] :: v_dual_mov_b32 v141, -1
	v_dual_fma_f64 v[38:39], v[102:103], v[92:93], -v[38:39] :: v_dual_mov_b32 v142, -1
	v_dual_mov_b32 v57, v70 :: v_dual_mov_b32 v56, v70
	v_dual_mov_b32 v47, v70 :: v_dual_mov_b32 v52, v70
	;; [unrolled: 1-line block ×7, first 2 shown]
	v_dual_mul_f64 v[24:25], v[24:25], v[18:19] :: v_dual_mov_b32 v54, v70
	v_mul_f64_e32 v[30:31], v[30:31], v[18:19]
	v_mul_f64_e32 v[18:19], v[22:23], v[18:19]
	s_delay_alu instid0(VALU_DEP_3) | instskip(NEXT) | instid1(VALU_DEP_3)
	v_fmac_f64_e32 v[24:25], v[20:21], v[38:39]
	v_fmac_f64_e32 v[30:31], v[26:27], v[38:39]
	s_delay_alu instid0(VALU_DEP_3) | instskip(NEXT) | instid1(VALU_DEP_3)
	v_fmac_f64_e32 v[18:19], v[32:33], v[38:39]
	v_fmac_f64_e32 v[24:25], v[34:35], v[12:13]
	s_delay_alu instid0(VALU_DEP_3) | instskip(NEXT) | instid1(VALU_DEP_3)
	v_fmac_f64_e32 v[30:31], v[36:37], v[12:13]
	v_fmac_f64_e32 v[18:19], v[28:29], v[12:13]
	s_delay_alu instid0(VALU_DEP_3) | instskip(NEXT) | instid1(VALU_DEP_3)
	v_dual_mul_f64 v[110:111], v[24:25], v[10:11] :: v_dual_mov_b32 v129, v70
	v_mul_f64_e32 v[108:109], v[30:31], v[10:11]
	s_delay_alu instid0(VALU_DEP_3)
	v_mul_f64_e32 v[106:107], v[18:19], v[10:11]
	v_fma_f64 v[120:121], -v[24:25], v[10:11], v[0:1]
	v_fma_f64 v[118:119], -v[30:31], v[10:11], v[2:3]
	;; [unrolled: 1-line block ×3, first 2 shown]
	v_mov_b64_e32 v[12:13], v[64:65]
	v_mov_b64_e32 v[14:15], v[66:67]
	v_mov_b64_e32 v[16:17], v[68:69]
	v_mov_b64_e32 v[18:19], v[70:71]
	v_mov_b64_e32 v[20:21], v[72:73]
	v_mov_b64_e32 v[22:23], v[74:75]
	v_mov_b64_e32 v[24:25], v[76:77]
	v_mov_b64_e32 v[26:27], v[78:79]
	v_mov_b64_e32 v[28:29], v[80:81]
	v_mov_b64_e32 v[30:31], v[82:83]
	v_dual_mov_b32 v10, v70 :: v_dual_mov_b32 v11, v70
	v_dual_mov_b32 v30, v70 :: v_dual_mov_b32 v31, v70
	v_mov_b64_e32 v[32:33], v[84:85]
	v_mov_b64_e32 v[34:35], v[86:87]
	;; [unrolled: 1-line block ×6, first 2 shown]
	s_and_saveexec_b32 s9, s0
	s_cbranch_execz .LBB4_10
; %bb.9:
	v_lshl_add_u32 v10, v140, 3, v134
	v_lshl_add_u32 v12, v135, 3, v134
	;; [unrolled: 1-line block ×4, first 2 shown]
	v_cmp_eq_u32_e64 s4, 1, v135
	ds_load_b64 v[10:11], v10
	ds_load_b64 v[12:13], v12
	;; [unrolled: 1-line block ×4, first 2 shown]
	v_cmp_eq_u32_e64 s5, 1, v140
	v_cmp_eq_u32_e64 s1, 1, v137
	;; [unrolled: 1-line block ×3, first 2 shown]
	v_cndmask_b32_e64 v44, v64, v66, s4
	v_cmp_eq_u32_e64 s6, 2, v135
	s_delay_alu instid0(VALU_DEP_4)
	v_dual_cndmask_b32 v40, v117, v115, s5 :: v_dual_cndmask_b32 v41, v117, v115, s1
	v_dual_cndmask_b32 v46, v64, v66, s5 :: v_dual_cndmask_b32 v49, v111, v109, s5
	;; [unrolled: 1-line block ×3, first 2 shown]
	v_cndmask_b32_e64 v54, v120, v118, s5
	v_cmp_eq_u32_e64 s2, 1, v138
	v_dual_cndmask_b32 v47, v111, v109, s4 :: v_dual_cndmask_b32 v48, v110, v108, s4
	v_dual_cndmask_b32 v51, v121, v119, s4 :: v_dual_cndmask_b32 v52, v120, v118, s4
	s_wait_dscnt 0x3
	v_add_f64_e64 v[18:19], -v[10:11], 0
	s_wait_dscnt 0x2
	v_dual_add_f64 v[10:11], v[12:13], -v[10:11] :: v_dual_mov_b32 v141, 3
	s_wait_dscnt 0x1
	v_add_f64_e64 v[20:21], -v[14:15], 0
	s_wait_dscnt 0x0
	v_dual_add_f64 v[26:27], v[16:17], -v[14:15] :: v_dual_mov_b32 v142, 4
	v_cndmask_b32_e64 v42, v117, v115, s2
	v_dual_cndmask_b32 v57, v65, v67, s1 :: v_dual_cndmask_b32 v59, v64, v66, s1
	v_dual_cndmask_b32 v60, v65, v67, s2 :: v_dual_cndmask_b32 v61, v64, v66, s2
	v_dual_mov_b32 v63, v70 :: v_dual_cndmask_b32 v38, v117, v115, s4
	v_dual_mov_b32 v39, 5 :: v_dual_cndmask_b32 v43, v116, v114, s4
	;; [unrolled: 1-line block ×3, first 2 shown]
	s_delay_alu instid0(VALU_DEP_3)
	v_cndmask_b32_e64 v38, v38, v113, s6
	scratch_store_b32 off, v39, off offset:4
	v_dual_cndmask_b32 v55, v116, v114, s1 :: v_dual_cndmask_b32 v56, v116, v114, s2
	v_mov_b32_e32 v62, v70
	v_div_scale_f64 v[12:13], null, v[10:11], v[10:11], v[18:19]
	v_div_scale_f64 v[30:31], vcc_lo, v[18:19], v[10:11], v[18:19]
	v_div_scale_f64 v[16:17], null, v[26:27], v[26:27], v[20:21]
	v_div_scale_f64 v[32:33], s3, v[20:21], v[26:27], v[20:21]
	s_delay_alu instid0(VALU_DEP_4) | instskip(NEXT) | instid1(VALU_DEP_2)
	v_rcp_f64_e32 v[24:25], v[12:13]
	v_rcp_f64_e32 v[28:29], v[16:17]
	s_delay_alu instid0(TRANS32_DEP_2) | instskip(NEXT) | instid1(TRANS32_DEP_1)
	v_fma_f64 v[14:15], -v[12:13], v[24:25], 1.0
	v_fma_f64 v[22:23], -v[16:17], v[28:29], 1.0
	s_delay_alu instid0(VALU_DEP_2) | instskip(NEXT) | instid1(VALU_DEP_2)
	v_fmac_f64_e32 v[24:25], v[24:25], v[14:15]
	v_fmac_f64_e32 v[28:29], v[28:29], v[22:23]
	s_delay_alu instid0(VALU_DEP_2) | instskip(NEXT) | instid1(VALU_DEP_2)
	v_fma_f64 v[14:15], -v[12:13], v[24:25], 1.0
	v_fma_f64 v[22:23], -v[16:17], v[28:29], 1.0
	s_delay_alu instid0(VALU_DEP_2) | instskip(SKIP_1) | instid1(VALU_DEP_3)
	v_fmac_f64_e32 v[24:25], v[24:25], v[14:15]
	v_mov_b32_e32 v14, v66
	v_fmac_f64_e32 v[28:29], v[28:29], v[22:23]
	v_dual_mov_b32 v22, v70 :: v_dual_mov_b32 v23, v70
	s_delay_alu instid0(VALU_DEP_4) | instskip(NEXT) | instid1(VALU_DEP_3)
	v_mul_f64_e32 v[34:35], v[30:31], v[24:25]
	v_dual_mul_f64 v[36:37], v[32:33], v[28:29] :: v_dual_mov_b32 v15, v67
	s_delay_alu instid0(VALU_DEP_2) | instskip(SKIP_1) | instid1(VALU_DEP_3)
	v_fma_f64 v[30:31], -v[12:13], v[34:35], v[30:31]
	v_dual_mov_b32 v12, v64 :: v_dual_mov_b32 v13, v65
	v_fma_f64 v[32:33], -v[16:17], v[36:37], v[32:33]
	v_dual_mov_b32 v16, v68 :: v_dual_mov_b32 v17, v69
	s_delay_alu instid0(VALU_DEP_4)
	v_div_fmas_f64 v[30:31], v[30:31], v[24:25], v[34:35]
	v_cndmask_b32_e64 v35, v116, v114, s5
	v_dual_cndmask_b32 v34, v40, v113, s7 :: v_dual_cndmask_b32 v40, v65, v67, s4
	s_mov_b32 vcc_lo, s3
	v_cmp_eq_u32_e64 s3, 3, v140
	v_div_fmas_f64 v[28:29], v[32:33], v[28:29], v[36:37]
	v_dual_cndmask_b32 v32, v49, v107, s7 :: v_dual_cndmask_b32 v33, v50, v106, s7
	v_cmp_eq_u32_e64 s5, 4, v140
	v_cmp_eq_u32_e64 s4, 2, v137
	v_cmp_eq_u32_e32 vcc_lo, 2, v138
	v_dual_mov_b32 v24, v70 :: v_dual_mov_b32 v25, v70
	s_delay_alu instid0(VALU_DEP_3) | instskip(SKIP_2) | instid1(VALU_DEP_1)
	v_dual_mov_b32 v50, v70 :: v_dual_cndmask_b32 v41, v41, v113, s4
	v_cndmask_b32_e32 v42, v42, v113, vcc_lo
	v_cndmask_b32_e64 v32, v32, 0, s3
	v_cndmask_b32_e64 v32, v32, 0, s5
	v_div_fixup_f64 v[10:11], v[30:31], v[10:11], v[18:19]
	v_dual_cndmask_b32 v19, v35, v112, s7 :: v_dual_cndmask_b32 v30, v45, v69, s7
	v_cndmask_b32_e64 v18, v34, 0, s3
	v_dual_cndmask_b32 v31, v46, v68, s7 :: v_dual_cndmask_b32 v34, v53, v3, s7
	v_cndmask_b32_e64 v35, v54, v2, s7
	s_delay_alu instid0(VALU_DEP_4) | instskip(SKIP_1) | instid1(VALU_DEP_4)
	v_cndmask_b32_e64 v30, v30, 0, s3
	v_cndmask_b32_e64 v19, v19, 0, s3
	;; [unrolled: 1-line block ×6, first 2 shown]
	v_cmp_eq_u32_e64 s3, 5, v140
	v_cndmask_b32_e64 v30, v30, 0, s5
	v_cndmask_b32_e64 v36, v31, 0, s5
	;; [unrolled: 1-line block ×9, first 2 shown]
	v_cmp_eq_u32_e64 s5, 6, v140
	v_cndmask_b32_e64 v19, v19, 0, s3
	v_cndmask_b32_e64 v36, v36, 0, s3
	;; [unrolled: 1-line block ×7, first 2 shown]
	v_cmp_eq_u32_e64 s3, 7, v140
	v_add_f64_e64 v[30:31], -v[10:11], 1.0
	v_cndmask_b32_e64 v19, v19, 0, s5
	v_cndmask_b32_e64 v37, v37, 0, s5
	;; [unrolled: 1-line block ×8, first 2 shown]
	v_cmp_eq_u32_e64 s5, 8, v140
	v_cndmask_b32_e64 v36, v36, 0, s3
	v_cndmask_b32_e64 v45, v45, 0, s3
	;; [unrolled: 1-line block ×9, first 2 shown]
	v_cmp_eq_u32_e64 s3, 3, v135
	v_cndmask_b32_e64 v32, v18, 0, s5
	v_cndmask_b32_e64 v19, v19, 0, s5
	v_cndmask_b32_e64 v18, v36, 0, s5
	v_cndmask_b32_e64 v35, v37, 0, s5
	v_cndmask_b32_e64 v37, v46, 0, s5
	v_cndmask_b32_e64 v36, v49, 0, s5
	v_cmp_eq_u32_e64 s5, 4, v135
	v_div_fixup_f64 v[26:27], v[28:29], v[26:27], v[20:21]
	v_dual_cndmask_b32 v46, v110, v108, s1 :: v_dual_cndmask_b32 v49, v111, v109, s2
	v_dual_cndmask_b32 v45, v111, v109, s1 :: v_dual_mov_b32 v53, v70
	v_mul_f64_e32 v[18:19], v[18:19], v[30:31]
	v_dual_mul_f64 v[126:127], v[32:33], v[30:31] :: v_dual_cndmask_b32 v32, v110, v108, s2
	v_dual_mul_f64 v[122:123], v[34:35], v[30:31] :: v_dual_cndmask_b32 v34, v44, v68, s6
	;; [unrolled: 1-line block ×3, first 2 shown]
	v_cndmask_b32_e64 v30, v38, 0, s3
	v_dual_cndmask_b32 v33, v40, v69, s6 :: v_dual_cndmask_b32 v35, v47, v107, s6
	v_dual_cndmask_b32 v36, v48, v106, s6 :: v_dual_cndmask_b32 v37, v51, v3, s6
	v_cndmask_b32_e64 v38, v52, v2, s6
	v_cndmask_b32_e64 v31, v31, 0, s3
	;; [unrolled: 1-line block ×9, first 2 shown]
	v_cmp_eq_u32_e64 s3, 5, v135
	v_cndmask_b32_e64 v31, v31, 0, s5
	v_cndmask_b32_e64 v33, v33, 0, s5
	;; [unrolled: 1-line block ×8, first 2 shown]
	v_cmp_eq_u32_e64 s5, 6, v135
	v_cndmask_b32_e64 v31, v31, 0, s3
	v_cndmask_b32_e64 v33, v33, 0, s3
	;; [unrolled: 1-line block ×8, first 2 shown]
	v_cmp_eq_u32_e64 s3, 7, v135
	v_cndmask_b32_e64 v31, v31, 0, s5
	v_cmp_eq_u32_e64 s6, 8, v135
	v_cndmask_b32_e64 v33, v33, 0, s5
	v_cndmask_b32_e64 v34, v34, 0, s5
	;; [unrolled: 1-line block ×16, first 2 shown]
	v_fmac_f64_e32 v[126:127], v[30:31], v[10:11]
	v_cndmask_b32_e64 v30, v37, 0, s3
	v_cndmask_b32_e64 v31, v38, 0, s3
	;; [unrolled: 1-line block ×4, first 2 shown]
	v_fmac_f64_e32 v[18:19], v[20:21], v[10:11]
	v_cndmask_b32_e64 v21, v30, 0, s6
	v_cndmask_b32_e64 v20, v31, 0, s6
	;; [unrolled: 1-line block ×3, first 2 shown]
	v_fmac_f64_e32 v[122:123], v[28:29], v[10:11]
	v_dual_cndmask_b32 v28, v120, v118, s1 :: v_dual_cndmask_b32 v29, v121, v119, s2
	v_cndmask_b32_e64 v30, v120, v118, s2
	v_fmac_f64_e32 v[130:131], v[20:21], v[10:11]
	v_dual_cndmask_b32 v20, v55, v112, s4 :: v_dual_cndmask_b32 v21, v56, v112, vcc_lo
	v_dual_cndmask_b32 v31, v57, v69, s4 :: v_dual_cndmask_b32 v34, v59, v68, s4
	v_dual_cndmask_b32 v35, v60, v69 :: v_dual_cndmask_b32 v36, v61, v68
	v_dual_cndmask_b32 v40, v49, v107, vcc_lo :: v_dual_cndmask_b32 v32, v32, v106, vcc_lo
	v_dual_cndmask_b32 v33, v33, v3, s4 :: v_dual_cndmask_b32 v28, v28, v2, s4
	v_dual_cndmask_b32 v29, v29, v3 :: v_dual_cndmask_b32 v30, v30, v2
	v_cmp_eq_u32_e32 vcc_lo, 3, v137
	v_cmp_eq_u32_e64 s1, 3, v138
	v_add_f64_e64 v[10:11], -v[26:27], 1.0
	v_dual_cndmask_b32 v37, v45, v107, s4 :: v_dual_cndmask_b32 v38, v46, v106, s4
	v_cmp_eq_u32_e64 s2, 4, v137
	v_dual_cndmask_b32 v41, v41, v127 :: v_dual_cndmask_b32 v20, v20, v126
	v_dual_cndmask_b32 v42, v42, v127, s1 :: v_dual_cndmask_b32 v21, v21, v126, s1
	v_cmp_eq_u32_e64 s3, 4, v138
	v_dual_cndmask_b32 v31, v31, v19 :: v_dual_cndmask_b32 v34, v34, v18
	v_dual_cndmask_b32 v35, v35, v19, s1 :: v_dual_cndmask_b32 v36, v36, v18, s1
	v_cndmask_b32_e64 v40, v40, v123, s1
	v_dual_cndmask_b32 v32, v32, v122, s1 :: v_dual_cndmask_b32 v37, v37, v123, vcc_lo
	v_cndmask_b32_e32 v38, v38, v122, vcc_lo
	v_dual_cndmask_b32 v28, v28, v130, vcc_lo :: v_dual_cndmask_b32 v29, v29, v131, s1
	v_dual_cndmask_b32 v30, v30, v130, s1 :: v_dual_cndmask_b32 v33, v33, v131, vcc_lo
	v_cmp_eq_u32_e32 vcc_lo, 5, v137
	v_cndmask_b32_e64 v20, v20, 0, s2
	v_cndmask_b32_e64 v42, v42, 0, s3
	v_cmp_eq_u32_e64 s1, 5, v138
	v_cndmask_b32_e64 v21, v21, 0, s3
	v_cndmask_b32_e64 v31, v31, 0, s2
	;; [unrolled: 1-line block ×10, first 2 shown]
	v_cndmask_b32_e64 v45, v20, 0, vcc_lo
	v_cndmask_b32_e64 v20, v42, 0, s1
	v_cmp_eq_u32_e64 s3, 6, v138
	v_cndmask_b32_e64 v21, v21, 0, s1
	v_cndmask_b32_e64 v42, v31, 0, vcc_lo
	v_cndmask_b32_e64 v30, v35, 0, s1
	v_cndmask_b32_e64 v31, v36, 0, s1
	v_cndmask_b32_e64 v33, v40, 0, s1
	v_cndmask_b32_e64 v32, v32, 0, s1
	v_cndmask_b32_e64 v28, v28, 0, s1
	v_cndmask_b32_e64 v29, v29, 0, s1
	v_cndmask_b32_e64 v37, v37, 0, s2
	v_cndmask_b32_e64 v38, v38, 0, s2
	v_cndmask_b32_e64 v20, v20, 0, s3
	v_cmp_eq_u32_e64 s1, 7, v138
	v_cndmask_b32_e64 v21, v21, 0, s3
	v_cndmask_b32_e64 v30, v30, 0, s3
	;; [unrolled: 1-line block ×7, first 2 shown]
	v_cndmask_b32_e64 v35, v37, 0, vcc_lo
	v_cndmask_b32_e64 v36, v38, 0, vcc_lo
	v_cndmask_b32_e64 v20, v20, 0, s1
	v_cmp_eq_u32_e64 s3, 8, v138
	v_cndmask_b32_e64 v37, v21, 0, s1
	v_cndmask_b32_e64 v30, v30, 0, s1
	;; [unrolled: 1-line block ×15, first 2 shown]
	v_mul_f64_e32 v[128:129], v[10:11], v[20:21]
	v_mul_f64_e32 v[20:21], v[10:11], v[28:29]
	;; [unrolled: 1-line block ×3, first 2 shown]
	v_cndmask_b32_e64 v41, v41, 0, s2
	v_mul_f64_e32 v[132:133], v[10:11], v[32:33]
	v_cndmask_b32_e64 v34, v34, 0, s2
	v_cmp_eq_u32_e64 s2, 6, v137
	v_cndmask_b32_e64 v37, v43, 0, vcc_lo
	v_cndmask_b32_e64 v41, v41, 0, vcc_lo
	v_cndmask_b32_e64 v10, v44, 0, vcc_lo
	v_cndmask_b32_e64 v34, v34, 0, vcc_lo
	v_cmp_eq_u32_e32 vcc_lo, 7, v137
	v_cndmask_b32_e64 v28, v45, 0, s2
	v_cndmask_b32_e64 v11, v41, 0, s2
	;; [unrolled: 1-line block ×8, first 2 shown]
	v_cndmask_b32_e64 v11, v11, 0, vcc_lo
	v_cmp_eq_u32_e64 s1, 8, v137
	v_cndmask_b32_e64 v28, v28, 0, vcc_lo
	v_cndmask_b32_e64 v29, v29, 0, vcc_lo
	;; [unrolled: 1-line block ×7, first 2 shown]
	v_cndmask_b32_e64 v11, v11, 0, s1
	v_cndmask_b32_e64 v10, v28, 0, s1
	;; [unrolled: 1-line block ×8, first 2 shown]
	v_fmac_f64_e32 v[128:129], v[26:27], v[10:11]
	v_fmac_f64_e32 v[20:21], v[26:27], v[28:29]
	;; [unrolled: 1-line block ×3, first 2 shown]
	v_dual_mov_b32 v28, v70 :: v_dual_mov_b32 v29, v70
	v_fmac_f64_e32 v[132:133], v[26:27], v[32:33]
	v_dual_mov_b32 v26, v70 :: v_dual_mov_b32 v27, v70
	v_dual_mov_b32 v55, v70 :: v_dual_mov_b32 v60, v70
	;; [unrolled: 1-line block ×10, first 2 shown]
	v_mov_b32_e32 v61, v70
.LBB4_10:
	s_wait_xcnt 0x0
	s_or_b32 exec_lo, exec_lo, s9
	s_mov_b32 s1, 0
	scratch_store_b32 off, v139, off
	s_branch .LBB4_12
.LBB4_11:                               ;   in Loop: Header=BB4_12 Depth=1
	s_wait_xcnt 0x0
	s_or_b32 exec_lo, exec_lo, s3
	s_wait_dscnt 0x0
	v_cmp_gt_i32_e32 vcc_lo, 0, v32
	v_mov_b32_e32 v70, v32
	s_or_b32 s1, vcc_lo, s1
	s_delay_alu instid0(SALU_CYCLE_1)
	s_and_not1_b32 exec_lo, exec_lo, s1
	s_cbranch_execz .LBB4_18
.LBB4_12:                               ; =>This Inner Loop Header: Depth=1
	s_delay_alu instid0(VALU_DEP_1) | instskip(SKIP_2) | instid1(VALU_DEP_1)
	v_lshlrev_b32_e32 v32, 2, v70
	s_mov_b32 s2, 0
	s_mov_b32 s3, exec_lo
	v_add_nc_u32_e32 v33, v134, v32
	s_delay_alu instid0(VALU_DEP_1)
	v_add_nc_u32_e32 v32, v33, v32
	ds_load_b64 v[34:35], v32
	ds_load_b32 v32, v33 offset:40
	s_wait_dscnt 0x1
	s_wait_xcnt 0x0
	v_cmpx_ngt_f64_e32 0, v[34:35]
	s_xor_b32 s3, exec_lo, s3
	s_cbranch_execnz .LBB4_15
; %bb.13:                               ;   in Loop: Header=BB4_12 Depth=1
	s_or_saveexec_b32 s3, s3
	v_mov_b32_e32 v34, 0
	s_xor_b32 exec_lo, exec_lo, s3
	s_cbranch_execnz .LBB4_16
.LBB4_14:                               ;   in Loop: Header=BB4_12 Depth=1
	s_or_b32 exec_lo, exec_lo, s3
	s_and_saveexec_b32 s3, s2
	s_cbranch_execz .LBB4_11
	s_branch .LBB4_17
.LBB4_15:                               ;   in Loop: Header=BB4_12 Depth=1
	scratch_load_b32 v33, off, off
	s_wait_loadcnt 0x0
	v_cmp_eq_u32_e32 vcc_lo, -1, v33
                                        ; implicit-def: $vgpr33
	s_and_b32 s2, vcc_lo, exec_lo
	s_wait_xcnt 0x0
	s_or_saveexec_b32 s3, s3
	v_mov_b32_e32 v34, 0
	s_xor_b32 exec_lo, exec_lo, s3
	s_cbranch_execz .LBB4_14
.LBB4_16:                               ;   in Loop: Header=BB4_12 Depth=1
	scratch_load_b32 v35, off, off offset:4
	v_mov_b32_e32 v34, 4
	s_or_b32 s2, s2, exec_lo
	s_wait_loadcnt 0x0
	ds_store_b32 v33, v35 offset:40
	s_wait_xcnt 0x0
	s_or_b32 exec_lo, exec_lo, s3
	s_and_saveexec_b32 s3, s2
	s_cbranch_execz .LBB4_11
.LBB4_17:                               ;   in Loop: Header=BB4_12 Depth=1
	scratch_store_b32 v34, v70, off
	s_branch .LBB4_11
.LBB4_18:
	s_or_b32 exec_lo, exec_lo, s1
	s_and_saveexec_b32 s1, s0
	s_cbranch_execz .LBB4_20
; %bb.19:
	v_cmp_gt_f64_e32 vcc_lo, 0, v[0:1]
	v_lshl_add_u32 v0, v135, 2, v134
	v_lshl_add_u32 v1, v141, 2, v134
	v_lshl_add_u32 v33, v142, 2, v134
	s_or_b32 s0, s8, vcc_lo
	s_delay_alu instid0(SALU_CYCLE_1)
	v_cndmask_b32_e64 v32, v136, -1, s0
	ds_store_b32 v0, v141 offset:40
	ds_store_b32 v1, v142 offset:40
	;; [unrolled: 1-line block ×3, first 2 shown]
.LBB4_20:
	s_or_b32 exec_lo, exec_lo, s1
	scratch_load_b32 v38, off, off
	v_mov_b64_e32 v[34:35], -1
	s_mov_b32 s27, 0
	v_dual_mov_b32 v39, -1 :: v_dual_mov_b32 v40, -1
	s_wait_loadcnt 0x0
	v_cmp_eq_u32_e32 vcc_lo, 1, v38
	v_cmp_eq_u32_e64 s0, 2, v38
	v_dual_cndmask_b32 v0, v117, v115 :: v_dual_cndmask_b32 v1, v116, v114
	v_cmp_eq_u32_e32 vcc_lo, 3, v38
	s_delay_alu instid0(VALU_DEP_2) | instskip(SKIP_1) | instid1(VALU_DEP_2)
	v_dual_cndmask_b32 v0, v0, v113, s0 :: v_dual_cndmask_b32 v1, v1, v112, s0
	v_cmp_lt_i32_e64 s0, -1, v38
	v_dual_cndmask_b32 v0, v0, v127 :: v_dual_cndmask_b32 v1, v1, v126
	v_cmp_eq_u32_e32 vcc_lo, 4, v38
	s_delay_alu instid0(VALU_DEP_2) | instskip(SKIP_1) | instid1(VALU_DEP_2)
	v_dual_cndmask_b32 v0, v0, v129 :: v_dual_cndmask_b32 v1, v1, v128
	v_cmp_eq_u32_e32 vcc_lo, 5, v38
	v_dual_cndmask_b32 v0, v0, v55 :: v_dual_cndmask_b32 v1, v1, v58
	v_cmp_eq_u32_e32 vcc_lo, 6, v38
	s_delay_alu instid0(VALU_DEP_2) | instskip(SKIP_1) | instid1(VALU_DEP_2)
	v_dual_cndmask_b32 v0, v0, v53 :: v_dual_cndmask_b32 v1, v1, v60
	v_cmp_eq_u32_e32 vcc_lo, 7, v38
	v_dual_cndmask_b32 v0, v0, v51, vcc_lo :: v_dual_cndmask_b32 v32, v1, v62, vcc_lo
	v_cmp_eq_u32_e32 vcc_lo, 8, v38
	s_delay_alu instid0(VALU_DEP_2) | instskip(NEXT) | instid1(VALU_DEP_3)
	v_cndmask_b32_e32 v1, v0, v31, vcc_lo
	v_cndmask_b32_e32 v0, v32, v30, vcc_lo
	v_mov_b64_e32 v[32:33], -1
	s_wait_xcnt 0x0
	s_and_saveexec_b32 s5, s0
	s_cbranch_execz .LBB4_24
; %bb.21:
	v_mov_b64_e32 v[36:37], v[0:1]
	v_dual_mov_b32 v39, -1 :: v_dual_mov_b32 v33, v38
	v_dual_mov_b32 v32, -1 :: v_dual_mov_b32 v34, -1
	v_mov_b32_e32 v40, -1
	s_mov_b32 s6, 0
                                        ; implicit-def: $sgpr7
.LBB4_22:                               ; =>This Inner Loop Header: Depth=1
	s_delay_alu instid0(VALU_DEP_3)
	v_lshl_add_u32 v35, v33, 2, v134
	v_cmp_le_f64_e32 vcc_lo, 0, v[36:37]
	v_cmp_gt_f64_e64 s1, 0, v[36:37]
	ds_load_b32 v35, v35 offset:40
	s_wait_dscnt 0x0
	v_cmp_gt_i32_e64 s2, 0, v35
	s_delay_alu instid0(VALU_DEP_1) | instskip(NEXT) | instid1(VALU_DEP_1)
	v_cndmask_b32_e64 v41, v35, v38, s2
	v_cmp_eq_u32_e64 s3, 1, v41
	s_delay_alu instid0(VALU_DEP_1) | instskip(SKIP_3) | instid1(VALU_DEP_2)
	v_cndmask_b32_e64 v36, v117, v115, s3
	v_cmp_eq_u32_e64 s4, 2, v41
	v_cndmask_b32_e64 v37, v116, v114, s3
	v_cmp_eq_u32_e64 s3, 3, v41
	v_dual_cndmask_b32 v36, v36, v113, s4 :: v_dual_cndmask_b32 v37, v37, v112, s4
	s_delay_alu instid0(VALU_DEP_1) | instskip(SKIP_1) | instid1(VALU_DEP_1)
	v_dual_cndmask_b32 v36, v36, v127, s3 :: v_dual_cndmask_b32 v37, v37, v126, s3
	v_cmp_eq_u32_e64 s3, 4, v41
	v_dual_cndmask_b32 v36, v36, v129, s3 :: v_dual_cndmask_b32 v37, v37, v128, s3
	v_cmp_eq_u32_e64 s3, 5, v41
	s_delay_alu instid0(VALU_DEP_1) | instskip(SKIP_1) | instid1(VALU_DEP_1)
	v_dual_cndmask_b32 v36, v36, v55, s3 :: v_dual_cndmask_b32 v37, v37, v58, s3
	v_cmp_eq_u32_e64 s3, 6, v41
	v_dual_cndmask_b32 v36, v36, v53, s3 :: v_dual_cndmask_b32 v37, v37, v60, s3
	v_cmp_eq_u32_e64 s3, 7, v41
	s_delay_alu instid0(VALU_DEP_1) | instskip(SKIP_1) | instid1(VALU_DEP_1)
	v_dual_cndmask_b32 v36, v36, v51, s3 :: v_dual_cndmask_b32 v42, v37, v62, s3
	v_cmp_eq_u32_e64 s3, 8, v41
	v_dual_cndmask_b32 v37, v36, v31, s3 :: v_dual_cndmask_b32 v36, v42, v30, s3
	s_delay_alu instid0(VALU_DEP_1) | instskip(SKIP_3) | instid1(SALU_CYCLE_1)
	v_cmp_gt_f64_e64 s3, 0, v[36:37]
	v_cmp_le_f64_e64 s4, 0, v[36:37]
	s_and_b32 vcc_lo, vcc_lo, s3
	s_and_b32 s3, s1, s4
	v_dual_cndmask_b32 v34, v34, v41, vcc_lo :: v_dual_cndmask_b32 v40, v40, v41, s3
	v_dual_cndmask_b32 v39, v39, v33, vcc_lo :: v_dual_cndmask_b32 v32, v32, v33, s3
	s_or_b32 s6, s2, s6
	v_mov_b32_e32 v33, v35
	s_and_not1_b32 s2, s7, exec_lo
	s_and_b32 s1, s1, exec_lo
	s_delay_alu instid0(SALU_CYCLE_1)
	s_or_b32 s7, s2, s1
	s_and_not1_b32 exec_lo, exec_lo, s6
	s_cbranch_execnz .LBB4_22
; %bb.23:
	s_or_b32 exec_lo, exec_lo, s6
	s_delay_alu instid0(SALU_CYCLE_1)
	s_and_b32 s27, s7, exec_lo
.LBB4_24:
	s_or_b32 exec_lo, exec_lo, s5
	v_dual_mov_b32 v35, -1 :: v_dual_mov_b32 v33, -1
	v_cmp_lt_i32_e64 s1, -1, v39
	v_mov_b32_e32 v36, -1
	s_and_saveexec_b32 s30, s1
	s_cbranch_execz .LBB4_26
; %bb.25:
	v_cmp_eq_u32_e64 s9, 1, v34
	v_cmp_eq_u32_e64 s10, 2, v34
	v_cmp_eq_u32_e64 s11, 3, v34
	v_cmp_eq_u32_e64 s12, 4, v34
	v_cmp_eq_u32_e64 s13, 5, v34
	v_cndmask_b32_e64 v33, v117, v115, s9
	v_cmp_eq_u32_e64 s14, 6, v34
	v_cmp_eq_u32_e64 s15, 7, v34
	;; [unrolled: 1-line block ×3, first 2 shown]
	s_delay_alu instid0(VALU_DEP_4) | instskip(SKIP_3) | instid1(VALU_DEP_4)
	v_dual_cndmask_b32 v34, v116, v114, s9 :: v_dual_cndmask_b32 v33, v33, v113, s10
	v_cmp_eq_u32_e64 s17, 1, v39
	v_cmp_eq_u32_e64 s18, 2, v39
	;; [unrolled: 1-line block ×3, first 2 shown]
	v_dual_cndmask_b32 v34, v34, v112, s10 :: v_dual_cndmask_b32 v33, v33, v127, s11
	v_cmp_eq_u32_e64 s20, 4, v39
	v_cmp_eq_u32_e64 s21, 5, v39
	;; [unrolled: 1-line block ×3, first 2 shown]
	s_delay_alu instid0(VALU_DEP_4) | instskip(SKIP_2) | instid1(VALU_DEP_3)
	v_dual_cndmask_b32 v34, v34, v126, s11 :: v_dual_cndmask_b32 v33, v33, v129, s12
	v_cmp_eq_u32_e64 s23, 7, v39
	v_cmp_eq_u32_e64 s24, 8, v39
	v_dual_cndmask_b32 v34, v34, v128, s12 :: v_dual_cndmask_b32 v33, v33, v55, s13
	s_delay_alu instid0(VALU_DEP_1) | instskip(NEXT) | instid1(VALU_DEP_1)
	v_dual_cndmask_b32 v34, v34, v58, s13 :: v_dual_cndmask_b32 v33, v33, v53, s14
	v_dual_cndmask_b32 v34, v34, v60, s14 :: v_dual_cndmask_b32 v33, v33, v51, s15
	s_delay_alu instid0(VALU_DEP_1) | instskip(NEXT) | instid1(VALU_DEP_1)
	v_dual_cndmask_b32 v34, v34, v62, s15 :: v_dual_cndmask_b32 v37, v33, v31, s16
	v_dual_cndmask_b32 v33, v117, v115, s17 :: v_dual_cndmask_b32 v36, v34, v30, s16
	s_delay_alu instid0(VALU_DEP_1) | instskip(NEXT) | instid1(VALU_DEP_2)
	v_dual_cndmask_b32 v34, v116, v114, s17 :: v_dual_cndmask_b32 v33, v33, v113, s18
	v_add_f64_e64 v[64:65], -v[36:37], 0
	s_delay_alu instid0(VALU_DEP_2) | instskip(NEXT) | instid1(VALU_DEP_1)
	v_dual_cndmask_b32 v34, v34, v112, s18 :: v_dual_cndmask_b32 v33, v33, v127, s19
	v_dual_cndmask_b32 v34, v34, v126, s19 :: v_dual_cndmask_b32 v33, v33, v129, s20
	s_delay_alu instid0(VALU_DEP_1) | instskip(NEXT) | instid1(VALU_DEP_1)
	v_dual_cndmask_b32 v34, v34, v128, s20 :: v_dual_cndmask_b32 v33, v33, v55, s21
	v_dual_cndmask_b32 v34, v34, v58, s21 :: v_dual_cndmask_b32 v33, v33, v53, s22
	s_delay_alu instid0(VALU_DEP_1) | instskip(NEXT) | instid1(VALU_DEP_1)
	v_dual_cndmask_b32 v34, v34, v60, s22 :: v_dual_cndmask_b32 v33, v33, v51, s23
	v_dual_cndmask_b32 v34, v34, v62, s23 :: v_dual_cndmask_b32 v43, v33, v31, s24
	scratch_load_b32 v33, off, off offset:4
	v_cndmask_b32_e64 v42, v34, v30, s24
	s_delay_alu instid0(VALU_DEP_1) | instskip(NEXT) | instid1(VALU_DEP_1)
	v_add_f64_e64 v[66:67], v[42:43], -v[36:37]
	v_div_scale_f64 v[68:69], null, v[66:67], v[66:67], v[64:65]
	s_delay_alu instid0(VALU_DEP_1) | instskip(SKIP_1) | instid1(TRANS32_DEP_1)
	v_rcp_f64_e32 v[70:71], v[68:69]
	v_nop
	v_fma_f64 v[72:73], -v[68:69], v[70:71], 1.0
	s_delay_alu instid0(VALU_DEP_1) | instskip(NEXT) | instid1(VALU_DEP_1)
	v_fmac_f64_e32 v[70:71], v[70:71], v[72:73]
	v_fma_f64 v[72:73], -v[68:69], v[70:71], 1.0
	s_delay_alu instid0(VALU_DEP_1) | instskip(SKIP_1) | instid1(VALU_DEP_1)
	v_fmac_f64_e32 v[70:71], v[70:71], v[72:73]
	v_div_scale_f64 v[72:73], vcc_lo, v[64:65], v[66:67], v[64:65]
	v_mul_f64_e32 v[74:75], v[72:73], v[70:71]
	s_wait_loadcnt 0x0
	v_cmp_eq_u32_e64 s25, 7, v33
	s_delay_alu instid0(VALU_DEP_2)
	v_fma_f64 v[68:69], -v[68:69], v[74:75], v[72:73]
	v_cmp_eq_u32_e64 s5, 2, v33
	v_cmp_eq_u32_e64 s8, 4, v33
	v_cmp_eq_u32_e64 s4, 3, v33
	v_cmp_eq_u32_e64 s3, 6, v33
	v_cmp_eq_u32_e64 s7, 0, v33
	v_cmp_eq_u32_e64 s2, 5, v33
	v_cmp_eq_u32_e64 s6, 1, v33
	v_div_fmas_f64 v[68:69], v[68:69], v[70:71], v[74:75]
	v_cmp_eq_u32_e32 vcc_lo, 8, v33
	s_delay_alu instid0(VALU_DEP_2) | instskip(NEXT) | instid1(VALU_DEP_1)
	v_div_fixup_f64 v[64:65], v[68:69], v[66:67], v[64:65]
	v_add_f64_e64 v[66:67], -v[64:65], 1.0
	s_delay_alu instid0(VALU_DEP_1) | instskip(NEXT) | instid1(VALU_DEP_1)
	v_mul_f64_e32 v[36:37], v[36:37], v[66:67]
	v_fmac_f64_e32 v[36:37], v[42:43], v[64:65]
	s_delay_alu instid0(VALU_DEP_1) | instskip(SKIP_2) | instid1(VALU_DEP_3)
	v_dual_cndmask_b32 v34, v30, v36, vcc_lo :: v_dual_cndmask_b32 v30, v13, v15, s9
	v_dual_cndmask_b32 v41, v62, v36, s25 :: v_dual_cndmask_b32 v60, v60, v36, s3
	v_dual_cndmask_b32 v58, v58, v36, s2 :: v_dual_cndmask_b32 v62, v12, v14, s17
	;; [unrolled: 1-line block ×4, first 2 shown]
	s_delay_alu instid0(VALU_DEP_3) | instskip(NEXT) | instid1(VALU_DEP_3)
	v_cndmask_b32_e64 v62, v62, v16, s18
	v_cndmask_b32_e64 v30, v30, v19, s11
	s_delay_alu instid0(VALU_DEP_4) | instskip(SKIP_1) | instid1(VALU_DEP_4)
	v_cndmask_b32_e64 v42, v42, v16, s10
	v_dual_cndmask_b32 v71, v116, v36, s7 :: v_dual_cndmask_b32 v138, v31, v37, vcc_lo
	v_cndmask_b32_e64 v62, v62, v18, s19
	s_delay_alu instid0(VALU_DEP_4) | instskip(SKIP_2) | instid1(VALU_DEP_4)
	v_cndmask_b32_e64 v30, v30, v21, s12
	v_cndmask_b32_e64 v51, v51, v37, s25
	v_dual_cndmask_b32 v115, v115, v37, s6 :: v_dual_cndmask_b32 v129, v129, v37, s8
	v_cndmask_b32_e64 v62, v62, v20, s20
	s_delay_alu instid0(VALU_DEP_4) | instskip(SKIP_1) | instid1(VALU_DEP_3)
	v_dual_cndmask_b32 v30, v30, v23, s13 :: v_dual_cndmask_b32 v127, v127, v37, s4
	v_cndmask_b32_e64 v117, v117, v37, s7
	v_dual_cndmask_b32 v37, v113, v37, s5 :: v_dual_cndmask_b32 v62, v62, v22, s21
	s_delay_alu instid0(VALU_DEP_3) | instskip(NEXT) | instid1(VALU_DEP_2)
	v_cndmask_b32_e64 v30, v30, v25, s14
	v_cndmask_b32_e64 v62, v62, v24, s22
	s_delay_alu instid0(VALU_DEP_2) | instskip(NEXT) | instid1(VALU_DEP_2)
	v_cndmask_b32_e64 v30, v30, v27, s15
	v_cndmask_b32_e64 v62, v62, v26, s23
	s_delay_alu instid0(VALU_DEP_2) | instskip(SKIP_1) | instid1(VALU_DEP_3)
	v_dual_cndmask_b32 v43, v30, v29, s16 :: v_dual_cndmask_b32 v30, v13, v15, s17
	v_cndmask_b32_e64 v42, v42, v18, s11
	v_cndmask_b32_e64 v68, v62, v28, s24
	s_delay_alu instid0(VALU_DEP_3) | instskip(NEXT) | instid1(VALU_DEP_3)
	v_dual_cndmask_b32 v62, v128, v36, s8 :: v_dual_cndmask_b32 v30, v30, v17, s18
	v_cndmask_b32_e64 v42, v42, v20, s12
	s_delay_alu instid0(VALU_DEP_2) | instskip(NEXT) | instid1(VALU_DEP_2)
	v_cndmask_b32_e64 v30, v30, v19, s19
	v_cndmask_b32_e64 v42, v42, v22, s13
	s_delay_alu instid0(VALU_DEP_2) | instskip(NEXT) | instid1(VALU_DEP_2)
	v_cndmask_b32_e64 v30, v30, v21, s20
	;; [unrolled: 3-line block ×5, first 2 shown]
	v_mul_f64_e32 v[42:43], v[42:43], v[66:67]
	s_delay_alu instid0(VALU_DEP_2) | instskip(NEXT) | instid1(VALU_DEP_1)
	v_cndmask_b32_e64 v69, v30, v29, s24
	v_fmac_f64_e32 v[42:43], v[68:69], v[64:65]
	v_dual_cndmask_b32 v68, v126, v36, s4 :: v_dual_cndmask_b32 v69, v112, v36, s5
	s_delay_alu instid0(VALU_DEP_2) | instskip(NEXT) | instid1(VALU_DEP_3)
	v_dual_cndmask_b32 v80, v12, v42, s7 :: v_dual_cndmask_b32 v12, v111, v109, s9
	v_dual_cndmask_b32 v137, v13, v43, s7 :: v_dual_cndmask_b32 v136, v15, v43, s6
	;; [unrolled: 1-line block ×3, first 2 shown]
	s_delay_alu instid0(VALU_DEP_3) | instskip(SKIP_2) | instid1(VALU_DEP_3)
	v_dual_cndmask_b32 v12, v12, v107, s10 :: v_dual_cndmask_b32 v73, v26, v42, s25
	v_dual_cndmask_b32 v128, v19, v43, s4 :: v_dual_cndmask_b32 v76, v20, v42, s8
	v_cndmask_b32_e64 v116, v23, v43, s2
	v_cndmask_b32_e64 v12, v12, v123, s11
	v_dual_cndmask_b32 v126, v21, v43, s8 :: v_dual_cndmask_b32 v74, v24, v42, s3
	v_dual_cndmask_b32 v112, v27, v43, s25 :: v_dual_cndmask_b32 v72, v28, v42, vcc_lo
	s_delay_alu instid0(VALU_DEP_3) | instskip(NEXT) | instid1(VALU_DEP_1)
	v_dual_cndmask_b32 v12, v12, v125, s12 :: v_dual_cndmask_b32 v77, v18, v42, s4
	v_dual_cndmask_b32 v81, v29, v43, vcc_lo :: v_dual_cndmask_b32 v12, v12, v45, s13
	s_delay_alu instid0(VALU_DEP_1) | instskip(NEXT) | instid1(VALU_DEP_1)
	v_dual_cndmask_b32 v79, v14, v42, s6 :: v_dual_cndmask_b32 v12, v12, v49, s14
	v_dual_cndmask_b32 v13, v110, v108, s9 :: v_dual_cndmask_b32 v12, v12, v59, s15
	s_delay_alu instid0(VALU_DEP_1) | instskip(SKIP_1) | instid1(VALU_DEP_2)
	v_dual_cndmask_b32 v70, v114, v36, s6 :: v_dual_cndmask_b32 v13, v13, v106, s10
	v_cndmask_b32_e64 v114, v25, v43, s3
	v_cndmask_b32_e64 v13, v13, v122, s11
	s_delay_alu instid0(VALU_DEP_1) | instskip(NEXT) | instid1(VALU_DEP_1)
	v_dual_cndmask_b32 v75, v22, v42, s2 :: v_dual_cndmask_b32 v13, v13, v124, s12
	v_cndmask_b32_e64 v13, v13, v10, s13
	s_delay_alu instid0(VALU_DEP_1) | instskip(NEXT) | instid1(VALU_DEP_1)
	v_cndmask_b32_e64 v13, v13, v48, s14
	v_dual_cndmask_b32 v14, v13, v46, s15 :: v_dual_cndmask_b32 v13, v12, v57, s16
	s_delay_alu instid0(VALU_DEP_1) | instskip(NEXT) | instid1(VALU_DEP_1)
	v_dual_cndmask_b32 v12, v14, v44, s16 :: v_dual_cndmask_b32 v14, v111, v109, s17
	v_dual_mul_f64 v[12:13], v[12:13], v[66:67] :: v_dual_cndmask_b32 v15, v110, v108, s17
	s_delay_alu instid0(VALU_DEP_1) | instskip(NEXT) | instid1(VALU_DEP_1)
	v_dual_cndmask_b32 v14, v14, v107, s18 :: v_dual_cndmask_b32 v15, v15, v106, s18
	v_dual_cndmask_b32 v14, v14, v123, s19 :: v_dual_cndmask_b32 v15, v15, v122, s19
	s_delay_alu instid0(VALU_DEP_1) | instskip(NEXT) | instid1(VALU_DEP_1)
	v_dual_cndmask_b32 v14, v14, v125, s20 :: v_dual_cndmask_b32 v15, v15, v124, s20
	v_dual_cndmask_b32 v14, v14, v45, s21 :: v_dual_cndmask_b32 v15, v15, v10, s21
	s_delay_alu instid0(VALU_DEP_1) | instskip(NEXT) | instid1(VALU_DEP_1)
	v_dual_cndmask_b32 v14, v14, v49, s22 :: v_dual_cndmask_b32 v15, v15, v48, s22
	v_dual_cndmask_b32 v14, v14, v59, s23 :: v_dual_cndmask_b32 v16, v15, v46, s23
	s_delay_alu instid0(VALU_DEP_1) | instskip(SKIP_1) | instid1(VALU_DEP_2)
	v_dual_cndmask_b32 v15, v14, v57, s24 :: v_dual_cndmask_b32 v14, v16, v44, s24
	v_cndmask_b32_e64 v16, v120, v118, s17
	v_fmac_f64_e32 v[12:13], v[14:15], v[64:65]
	v_cndmask_b32_e64 v14, v120, v118, s9
	s_delay_alu instid0(VALU_DEP_1) | instskip(NEXT) | instid1(VALU_DEP_1)
	v_dual_cndmask_b32 v16, v16, v2, s18 :: v_dual_cndmask_b32 v14, v14, v2, s10
	v_cndmask_b32_e64 v16, v16, v130, s19
	s_delay_alu instid0(VALU_DEP_1) | instskip(NEXT) | instid1(VALU_DEP_1)
	v_cndmask_b32_e64 v16, v16, v132, s20
	v_cndmask_b32_e64 v16, v16, v56, s21
	s_delay_alu instid0(VALU_DEP_1) | instskip(NEXT) | instid1(VALU_DEP_1)
	v_cndmask_b32_e64 v16, v16, v54, s22
	v_cndmask_b32_e64 v16, v16, v52, s23
	v_dual_cndmask_b32 v48, v48, v12, s3 :: v_dual_cndmask_b32 v139, v10, v12, s2
	v_cndmask_b32_e64 v10, v121, v119, s9
	s_delay_alu instid0(VALU_DEP_3) | instskip(SKIP_2) | instid1(VALU_DEP_4)
	v_dual_cndmask_b32 v45, v45, v13, s2 :: v_dual_cndmask_b32 v16, v16, v50, s24
	v_cmp_eq_u32_e64 s9, 3, v40
	v_dual_cndmask_b32 v44, v44, v12, vcc_lo :: v_dual_cndmask_b32 v46, v46, v12, s25
	v_cndmask_b32_e64 v10, v10, v3, s10
	v_cmp_eq_u32_e64 s10, 4, v40
	v_dual_cndmask_b32 v57, v57, v13, vcc_lo :: v_dual_cndmask_b32 v123, v123, v13, s4
	s_delay_alu instid0(VALU_DEP_3) | instskip(SKIP_2) | instid1(VALU_DEP_3)
	v_dual_cndmask_b32 v109, v109, v13, s6 :: v_dual_cndmask_b32 v10, v10, v131, s11
	v_dual_cndmask_b32 v108, v108, v12, s6 :: v_dual_cndmask_b32 v59, v59, v13, s25
	;; [unrolled: 1-line block ×3, first 2 shown]
	v_cndmask_b32_e64 v10, v10, v133, s12
	v_cndmask_b32_e64 v110, v110, v12, s7
	s_delay_alu instid0(VALU_DEP_2) | instskip(NEXT) | instid1(VALU_DEP_1)
	v_cndmask_b32_e64 v10, v10, v11, s13
	v_cndmask_b32_e64 v10, v10, v47, s14
	s_delay_alu instid0(VALU_DEP_1) | instskip(NEXT) | instid1(VALU_DEP_1)
	v_cndmask_b32_e64 v10, v10, v63, s15
	v_dual_cndmask_b32 v15, v10, v61, s16 :: v_dual_cndmask_b32 v10, v121, v119, s17
	v_cndmask_b32_e64 v14, v14, v130, s11
	v_cmp_eq_u32_e64 s17, 4, v32
	v_cmp_eq_u32_e64 s11, 5, v40
	s_delay_alu instid0(VALU_DEP_4) | instskip(NEXT) | instid1(VALU_DEP_4)
	v_cndmask_b32_e64 v10, v10, v3, s18
	v_cndmask_b32_e64 v14, v14, v132, s12
	v_cmp_eq_u32_e64 s18, 5, v32
	v_cmp_eq_u32_e64 s12, 6, v40
	s_delay_alu instid0(VALU_DEP_4) | instskip(NEXT) | instid1(VALU_DEP_4)
	v_cndmask_b32_e64 v10, v10, v131, s19
	;; [unrolled: 5-line block ×6, first 2 shown]
	v_mul_f64_e32 v[14:15], v[14:15], v[66:67]
	v_cmp_eq_u32_e64 s23, 2, v40
	s_delay_alu instid0(VALU_DEP_3) | instskip(SKIP_1) | instid1(VALU_DEP_1)
	v_dual_cndmask_b32 v17, v10, v61, s24 :: v_dual_cndmask_b32 v10, v117, v115, s15
	v_cmp_eq_u32_e64 s24, 1, v40
	v_cndmask_b32_e64 v18, v71, v70, s24
	s_delay_alu instid0(VALU_DEP_3) | instskip(SKIP_4) | instid1(VALU_DEP_4)
	v_fmac_f64_e32 v[14:15], v[16:17], v[64:65]
	v_dual_cndmask_b32 v16, v71, v70, s15 :: v_dual_cndmask_b32 v17, v117, v115, s24
	v_cndmask_b32_e64 v10, v10, v37, s16
	v_cndmask_b32_e64 v111, v111, v13, s7
	v_cndmask_b32_e64 v107, v107, v13, s5
	v_cndmask_b32_e64 v16, v16, v69, s16
	v_cndmask_b32_e64 v17, v17, v37, s23
	v_cndmask_b32_e64 v18, v18, v69, s23
	s_delay_alu instid0(VALU_DEP_3) | instskip(NEXT) | instid1(VALU_DEP_2)
	v_dual_cndmask_b32 v10, v10, v127, s22 :: v_dual_cndmask_b32 v16, v16, v68, s22
	v_dual_cndmask_b32 v17, v17, v127, s9 :: v_dual_cndmask_b32 v18, v18, v68, s9
	s_delay_alu instid0(VALU_DEP_2) | instskip(NEXT) | instid1(VALU_DEP_2)
	v_dual_cndmask_b32 v10, v10, v129, s17 :: v_dual_cndmask_b32 v16, v16, v62, s17
	v_dual_cndmask_b32 v17, v17, v129, s10 :: v_dual_cndmask_b32 v18, v18, v62, s10
	s_delay_alu instid0(VALU_DEP_2) | instskip(NEXT) | instid1(VALU_DEP_2)
	v_dual_cndmask_b32 v10, v10, v55, s18 :: v_dual_cndmask_b32 v16, v16, v58, s18
	v_dual_cndmask_b32 v17, v17, v55, s11 :: v_dual_cndmask_b32 v18, v18, v58, s11
	s_delay_alu instid0(VALU_DEP_2) | instskip(NEXT) | instid1(VALU_DEP_2)
	v_dual_cndmask_b32 v10, v10, v53, s19 :: v_dual_cndmask_b32 v16, v16, v60, s19
	v_dual_cndmask_b32 v17, v17, v53, s12 :: v_dual_cndmask_b32 v18, v18, v60, s12
	s_delay_alu instid0(VALU_DEP_2) | instskip(SKIP_1) | instid1(VALU_DEP_3)
	v_dual_cndmask_b32 v10, v10, v51, s20 :: v_dual_cndmask_b32 v16, v16, v41, s20
	v_cndmask_b32_e32 v50, v50, v14, vcc_lo
	v_dual_cndmask_b32 v54, v54, v14, s3 :: v_dual_cndmask_b32 v19, v17, v51, s13
	s_delay_alu instid0(VALU_DEP_3) | instskip(NEXT) | instid1(VALU_DEP_4)
	v_dual_cndmask_b32 v18, v18, v41, s13 :: v_dual_cndmask_b32 v16, v16, v34, s21
	v_dual_cndmask_b32 v17, v10, v138, s21 :: v_dual_cndmask_b32 v32, v47, v15, s3
	s_delay_alu instid0(VALU_DEP_3) | instskip(NEXT) | instid1(VALU_DEP_3)
	v_cndmask_b32_e64 v19, v19, v138, s14
	v_cndmask_b32_e64 v18, v18, v34, s14
	;; [unrolled: 1-line block ×3, first 2 shown]
	s_delay_alu instid0(VALU_DEP_4) | instskip(SKIP_1) | instid1(VALU_DEP_4)
	v_add_f64_e64 v[20:21], -v[16:17], 0
	v_dual_cndmask_b32 v61, v61, v15, vcc_lo :: v_dual_cndmask_b32 v47, v122, v12, s4
	v_add_f64_e64 v[22:23], v[18:19], -v[16:17]
	v_dual_cndmask_b32 v141, v11, v15, s2 :: v_dual_cndmask_b32 v133, v133, v15, s8
	v_cndmask_b32_e64 v142, v3, v15, s5
	v_dual_cndmask_b32 v119, v119, v15, s6 :: v_dual_cndmask_b32 v10, v137, v136, s15
	v_dual_cndmask_b32 v3, v80, v79, s24 :: v_dual_cndmask_b32 v11, v80, v79, s15
	;; [unrolled: 1-line block ×4, first 2 shown]
	s_delay_alu instid0(VALU_DEP_3) | instskip(SKIP_1) | instid1(VALU_DEP_2)
	v_dual_cndmask_b32 v10, v10, v135, s16 :: v_dual_cndmask_b32 v11, v11, v78, s16
	v_dual_cndmask_b32 v118, v118, v14, s6 :: v_dual_cndmask_b32 v120, v120, v14, s7
	;; [unrolled: 1-line block ×3, first 2 shown]
	s_delay_alu instid0(VALU_DEP_3) | instskip(SKIP_3) | instid1(VALU_DEP_2)
	v_dual_cndmask_b32 v11, v11, v77, s22 :: v_dual_cndmask_b32 v56, v56, v14, s2
	v_dual_cndmask_b32 v63, v63, v15, s25 :: v_dual_cndmask_b32 v122, v125, v13, s8
	;; [unrolled: 1-line block ×5, first 2 shown]
	s_delay_alu instid0(VALU_DEP_2) | instskip(NEXT) | instid1(VALU_DEP_2)
	v_dual_cndmask_b32 v15, v15, v106, s16 :: v_dual_cndmask_b32 v13, v13, v106, s23
	v_cndmask_b32_e64 v11, v11, v75, s18
	v_div_scale_f64 v[24:25], null, v[22:23], v[22:23], v[20:21]
	s_delay_alu instid0(VALU_DEP_2) | instskip(NEXT) | instid1(VALU_DEP_2)
	v_cndmask_b32_e64 v11, v11, v74, s19
	v_rcp_f64_e32 v[26:27], v[24:25]
	v_nop
	s_delay_alu instid0(TRANS32_DEP_1) | instskip(NEXT) | instid1(VALU_DEP_1)
	v_fma_f64 v[28:29], -v[24:25], v[26:27], 1.0
	v_fmac_f64_e32 v[26:27], v[26:27], v[28:29]
	s_delay_alu instid0(VALU_DEP_1) | instskip(NEXT) | instid1(VALU_DEP_1)
	v_fma_f64 v[28:29], -v[24:25], v[26:27], 1.0
	v_fmac_f64_e32 v[26:27], v[26:27], v[28:29]
	v_div_scale_f64 v[28:29], vcc_lo, v[20:21], v[22:23], v[20:21]
	s_delay_alu instid0(VALU_DEP_1) | instskip(NEXT) | instid1(VALU_DEP_1)
	v_mul_f64_e32 v[30:31], v[28:29], v[26:27]
	v_fma_f64 v[24:25], -v[24:25], v[30:31], v[28:29]
	v_cndmask_b32_e64 v28, v3, v78, s23
	s_delay_alu instid0(VALU_DEP_1) | instskip(NEXT) | instid1(VALU_DEP_3)
	v_cndmask_b32_e64 v28, v28, v77, s9
	v_div_fmas_f64 v[24:25], v[24:25], v[26:27], v[30:31]
	v_dual_cndmask_b32 v27, v2, v135, s23 :: v_dual_cndmask_b32 v30, v124, v12, s8
	v_dual_cndmask_b32 v12, v111, v109, s24 :: v_dual_cndmask_b32 v31, v13, v47, s9
	v_lshl_add_u32 v26, v33, 2, v134
	s_delay_alu instid0(VALU_DEP_2)
	v_dual_cndmask_b32 v27, v27, v128, s9 :: v_dual_cndmask_b32 v12, v12, v107, s23
	ds_load_b32 v36, v26 offset:40
	s_wait_dscnt 0x0
	v_cmp_eq_u32_e32 vcc_lo, 8, v36
	v_cmp_eq_u32_e64 s2, 7, v36
	v_div_fixup_f64 v[20:21], v[24:25], v[22:23], v[20:21]
	v_dual_cndmask_b32 v22, v121, v119, s24 :: v_dual_cndmask_b32 v23, v120, v118, s24
	v_dual_cndmask_b32 v10, v10, v126, s17 :: v_dual_cndmask_b32 v24, v121, v119, s15
	v_cndmask_b32_e64 v25, v120, v118, s15
	s_delay_alu instid0(VALU_DEP_3) | instskip(NEXT) | instid1(VALU_DEP_3)
	v_dual_cndmask_b32 v22, v22, v142, s23 :: v_dual_cndmask_b32 v23, v23, v140, s23
	v_dual_cndmask_b32 v10, v10, v116, s18 :: v_dual_cndmask_b32 v29, v12, v123, s9
	s_delay_alu instid0(VALU_DEP_3) | instskip(SKIP_1) | instid1(VALU_DEP_3)
	v_dual_cndmask_b32 v24, v24, v142, s16 :: v_dual_cndmask_b32 v25, v25, v140, s16
	v_dual_cndmask_b32 v12, v14, v123, s22 :: v_dual_cndmask_b32 v14, v11, v73, s20
	;; [unrolled: 1-line block ×3, first 2 shown]
	s_delay_alu instid0(VALU_DEP_3) | instskip(SKIP_1) | instid1(VALU_DEP_3)
	v_dual_cndmask_b32 v15, v24, v131, s22 :: v_dual_cndmask_b32 v24, v25, v130, s22
	v_cmp_eq_u32_e64 s3, 6, v36
	v_dual_cndmask_b32 v10, v10, v112, s20 :: v_dual_cndmask_b32 v25, v27, v126, s10
	v_cmp_eq_u32_e64 s4, 5, v36
	v_cmp_eq_u32_e64 s5, 4, v36
	;; [unrolled: 1-line block ×3, first 2 shown]
	s_delay_alu instid0(VALU_DEP_4)
	v_cndmask_b32_e64 v11, v10, v81, s21
	v_cmp_eq_u32_e64 s7, 2, v36
	v_cmp_eq_u32_e64 s8, 1, v36
	v_dual_cndmask_b32 v10, v14, v72, s21 :: v_dual_cndmask_b32 v12, v12, v122, s17
	v_dual_cndmask_b32 v14, v28, v76, s10 :: v_dual_cndmask_b32 v13, v13, v30, s17
	v_cndmask_b32_e64 v15, v15, v133, s17
	v_add_f64_e64 v[2:3], -v[20:21], 1.0
	s_delay_alu instid0(VALU_DEP_3) | instskip(NEXT) | instid1(VALU_DEP_4)
	v_dual_cndmask_b32 v12, v12, v45, s18 :: v_dual_cndmask_b32 v14, v14, v75, s11
	v_cndmask_b32_e64 v13, v13, v139, s18
	s_delay_alu instid0(VALU_DEP_2) | instskip(NEXT) | instid1(VALU_DEP_2)
	v_dual_cndmask_b32 v22, v22, v131, s9 :: v_dual_cndmask_b32 v12, v12, v49, s19
	v_dual_cndmask_b32 v14, v14, v74, s12 :: v_dual_cndmask_b32 v13, v13, v48, s19
	s_delay_alu instid0(VALU_DEP_2) | instskip(SKIP_3) | instid1(VALU_DEP_2)
	v_cndmask_b32_e64 v12, v12, v59, s20
	v_mul_f64_e32 v[42:43], v[16:17], v[2:3]
	v_dual_mul_f64 v[10:11], v[10:11], v[2:3] :: v_dual_cndmask_b32 v16, v24, v132, s17
	v_dual_cndmask_b32 v17, v25, v116, s11 :: v_dual_cndmask_b32 v15, v15, v141, s18
	v_dual_cndmask_b32 v25, v14, v73, s13 :: v_dual_cndmask_b32 v16, v16, v56, s18
	s_delay_alu instid0(VALU_DEP_2) | instskip(NEXT) | instid1(VALU_DEP_1)
	v_dual_cndmask_b32 v17, v17, v114, s12 :: v_dual_cndmask_b32 v15, v15, v32, s19
	v_dual_cndmask_b32 v16, v16, v54, s19 :: v_dual_cndmask_b32 v17, v17, v112, s13
	s_delay_alu instid0(VALU_DEP_2) | instskip(SKIP_1) | instid1(VALU_DEP_3)
	v_dual_cndmask_b32 v24, v13, v46, s20 :: v_dual_cndmask_b32 v15, v15, v63, s20
	v_cndmask_b32_e64 v13, v12, v57, s21
	v_dual_cndmask_b32 v16, v16, v52, s20 :: v_dual_cndmask_b32 v17, v17, v81, s14
	s_delay_alu instid0(VALU_DEP_3) | instskip(NEXT) | instid1(VALU_DEP_2)
	v_dual_cndmask_b32 v12, v24, v44, s21 :: v_dual_cndmask_b32 v15, v15, v61, s21
	v_dual_cndmask_b32 v14, v16, v50, s21 :: v_dual_cndmask_b32 v16, v25, v72, s14
	s_delay_alu instid0(VALU_DEP_2) | instskip(SKIP_1) | instid1(VALU_DEP_2)
	v_dual_mul_f64 v[64:65], v[12:13], v[2:3] :: v_dual_cndmask_b32 v13, v22, v133, s10
	v_cndmask_b32_e64 v12, v31, v30, s10
	v_dual_mul_f64 v[66:67], v[14:15], v[2:3] :: v_dual_cndmask_b32 v13, v13, v141, s11
	s_delay_alu instid0(VALU_DEP_2) | instskip(SKIP_3) | instid1(VALU_DEP_4)
	v_dual_cndmask_b32 v2, v23, v130, s9 :: v_dual_cndmask_b32 v12, v12, v139, s11
	v_cndmask_b32_e64 v3, v29, v122, s10
	v_cmp_eq_u32_e64 s9, 0, v36
	v_fmac_f64_e32 v[42:43], v[18:19], v[20:21]
	v_cndmask_b32_e64 v2, v2, v132, s10
	v_fmac_f64_e32 v[10:11], v[16:17], v[20:21]
	v_dual_cndmask_b32 v3, v3, v45, s11 :: v_dual_cndmask_b32 v12, v12, v48, s12
	s_delay_alu instid0(VALU_DEP_3) | instskip(NEXT) | instid1(VALU_DEP_2)
	v_cndmask_b32_e64 v2, v2, v56, s11
	v_dual_cndmask_b32 v13, v13, v32, s12 :: v_dual_cndmask_b32 v3, v3, v49, s12
	s_delay_alu instid0(VALU_DEP_3) | instskip(NEXT) | instid1(VALU_DEP_2)
	v_cndmask_b32_e64 v12, v12, v46, s13
	v_dual_cndmask_b32 v2, v2, v54, s12 :: v_dual_cndmask_b32 v13, v13, v63, s13
	s_delay_alu instid0(VALU_DEP_1) | instskip(NEXT) | instid1(VALU_DEP_1)
	v_dual_cndmask_b32 v3, v3, v59, s13 :: v_dual_cndmask_b32 v14, v2, v52, s13
	v_dual_cndmask_b32 v2, v12, v44, s14 :: v_dual_cndmask_b32 v3, v3, v57, s14
	s_delay_alu instid0(VALU_DEP_2) | instskip(NEXT) | instid1(VALU_DEP_2)
	v_dual_cndmask_b32 v13, v13, v61, s14 :: v_dual_cndmask_b32 v12, v14, v50, s14
	v_fmac_f64_e32 v[64:65], v[2:3], v[20:21]
	v_lshl_add_u32 v2, v36, 2, v134
	s_delay_alu instid0(VALU_DEP_3)
	v_fmac_f64_e32 v[66:67], v[12:13], v[20:21]
	ds_load_b32 v2, v2 offset:40
	v_dual_cndmask_b32 v31, v138, v43, vcc_lo :: v_dual_cndmask_b32 v51, v51, v43, s2
	v_cndmask_b32_e64 v26, v73, v10, s2
	v_dual_cndmask_b32 v29, v81, v11, vcc_lo :: v_dual_cndmask_b32 v27, v112, v11, s2
	v_dual_cndmask_b32 v28, v72, v10, vcc_lo :: v_dual_cndmask_b32 v53, v53, v43, s3
	v_cndmask_b32_e64 v24, v74, v10, s3
	v_dual_cndmask_b32 v25, v114, v11, s3 :: v_dual_cndmask_b32 v23, v116, v11, s4
	v_dual_cndmask_b32 v55, v55, v43, s4 :: v_dual_cndmask_b32 v129, v129, v43, s5
	;; [unrolled: 1-line block ×10, first 2 shown]
	s_wait_dscnt 0x0
	scratch_store_b32 off, v2, off offset:4
	v_dual_cndmask_b32 v128, v62, v42, s5 :: v_dual_cndmask_b32 v126, v68, v42, s6
	v_dual_cndmask_b32 v112, v69, v42, s7 :: v_dual_cndmask_b32 v114, v70, v42, s8
	;; [unrolled: 1-line block ×9, first 2 shown]
	s_wait_xcnt 0x0
	v_dual_cndmask_b32 v3, v142, v67, s7 :: v_dual_cndmask_b32 v2, v140, v66, s7
	v_dual_cndmask_b32 v119, v119, v67, s8 :: v_dual_cndmask_b32 v118, v118, v66, s8
	;; [unrolled: 1-line block ×3, first 2 shown]
	v_dual_cndmask_b32 v30, v34, v42, vcc_lo :: v_dual_cndmask_b32 v62, v41, v42, s2
	v_dual_cndmask_b32 v60, v60, v42, s3 :: v_dual_cndmask_b32 v58, v58, v42, s4
	v_dual_cndmask_b32 v57, v57, v65 :: v_dual_cndmask_b32 v44, v44, v64
	v_dual_cndmask_b32 v59, v59, v65, s2 :: v_dual_cndmask_b32 v46, v46, v64, s2
	v_dual_cndmask_b32 v49, v49, v65, s3 :: v_dual_cndmask_b32 v48, v48, v64, s3
	v_dual_cndmask_b32 v45, v45, v65, s4 :: v_dual_cndmask_b32 v10, v139, v64, s4
	v_dual_cndmask_b32 v61, v61, v67 :: v_dual_cndmask_b32 v50, v50, v66
	v_dual_cndmask_b32 v63, v63, v67, s2 :: v_dual_cndmask_b32 v52, v52, v66, s2
	v_dual_cndmask_b32 v47, v32, v67, s3 :: v_dual_cndmask_b32 v54, v54, v66, s3
	;; [unrolled: 1-line block ×3, first 2 shown]
.LBB4_26:
	s_or_b32 exec_lo, exec_lo, s30
	scratch_store_b32 off, v35, off
	s_wait_xcnt 0x0
	s_and_saveexec_b32 s3, s0
	s_cbranch_execz .LBB4_35
; %bb.27:
	s_mov_b32 s4, 0
	s_branch .LBB4_29
.LBB4_28:                               ;   in Loop: Header=BB4_29 Depth=1
	s_wait_xcnt 0x0
	s_or_b32 exec_lo, exec_lo, s5
	s_wait_dscnt 0x0
	v_cmp_gt_i32_e32 vcc_lo, 0, v32
	v_mov_b32_e32 v38, v32
	s_or_b32 s4, vcc_lo, s4
	s_delay_alu instid0(SALU_CYCLE_1)
	s_and_not1_b32 exec_lo, exec_lo, s4
	s_cbranch_execz .LBB4_35
.LBB4_29:                               ; =>This Inner Loop Header: Depth=1
	s_delay_alu instid0(VALU_DEP_1) | instskip(SKIP_3) | instid1(VALU_DEP_2)
	v_cmp_eq_u32_e32 vcc_lo, 1, v38
	v_cmp_eq_u32_e64 s2, 2, v38
	v_dual_cndmask_b32 v32, v117, v115, vcc_lo :: v_dual_cndmask_b32 v34, v116, v114, vcc_lo
	v_cmp_eq_u32_e32 vcc_lo, 3, v38
	v_dual_cndmask_b32 v32, v32, v113, s2 :: v_dual_cndmask_b32 v34, v34, v112, s2
	s_mov_b32 s2, 0
	s_delay_alu instid0(VALU_DEP_1) | instskip(SKIP_1) | instid1(VALU_DEP_2)
	v_dual_cndmask_b32 v32, v32, v127, vcc_lo :: v_dual_cndmask_b32 v34, v34, v126, vcc_lo
	v_cmp_eq_u32_e32 vcc_lo, 4, v38
	v_dual_cndmask_b32 v32, v32, v129, vcc_lo :: v_dual_cndmask_b32 v34, v34, v128, vcc_lo
	v_cmp_eq_u32_e32 vcc_lo, 5, v38
	s_delay_alu instid0(VALU_DEP_2) | instskip(SKIP_1) | instid1(VALU_DEP_2)
	v_dual_cndmask_b32 v32, v32, v55, vcc_lo :: v_dual_cndmask_b32 v34, v34, v58, vcc_lo
	v_cmp_eq_u32_e32 vcc_lo, 6, v38
	v_dual_cndmask_b32 v32, v32, v53, vcc_lo :: v_dual_cndmask_b32 v34, v34, v60, vcc_lo
	v_cmp_eq_u32_e32 vcc_lo, 7, v38
	s_delay_alu instid0(VALU_DEP_2) | instskip(SKIP_1) | instid1(VALU_DEP_2)
	v_dual_cndmask_b32 v32, v32, v51, vcc_lo :: v_dual_cndmask_b32 v34, v34, v62, vcc_lo
	v_cmp_eq_u32_e32 vcc_lo, 8, v38
	v_dual_cndmask_b32 v35, v32, v31 :: v_dual_cndmask_b32 v34, v34, v30
	s_delay_alu instid0(VALU_DEP_1) | instskip(SKIP_3) | instid1(SALU_CYCLE_1)
	v_cmp_ngt_f64_e32 vcc_lo, 0, v[34:35]
	v_lshl_add_u32 v34, v38, 2, v134
	ds_load_b32 v32, v34 offset:40
	s_and_saveexec_b32 s5, vcc_lo
	s_xor_b32 s5, exec_lo, s5
	s_cbranch_execnz .LBB4_32
; %bb.30:                               ;   in Loop: Header=BB4_29 Depth=1
	s_or_saveexec_b32 s5, s5
	v_mov_b32_e32 v35, 0
	s_xor_b32 exec_lo, exec_lo, s5
	s_cbranch_execnz .LBB4_33
.LBB4_31:                               ;   in Loop: Header=BB4_29 Depth=1
	s_or_b32 exec_lo, exec_lo, s5
	s_and_saveexec_b32 s5, s2
	s_cbranch_execz .LBB4_28
	s_branch .LBB4_34
.LBB4_32:                               ;   in Loop: Header=BB4_29 Depth=1
	scratch_load_b32 v34, off, off
	s_wait_loadcnt 0x0
	v_cmp_eq_u32_e32 vcc_lo, -1, v34
                                        ; implicit-def: $vgpr34
	s_and_b32 s2, vcc_lo, exec_lo
	s_wait_xcnt 0x0
	s_or_saveexec_b32 s5, s5
	v_mov_b32_e32 v35, 0
	s_xor_b32 exec_lo, exec_lo, s5
	s_cbranch_execz .LBB4_31
.LBB4_33:                               ;   in Loop: Header=BB4_29 Depth=1
	scratch_load_b32 v37, off, off offset:4
	v_mov_b32_e32 v35, 4
	s_or_b32 s2, s2, exec_lo
	s_wait_loadcnt 0x0
	ds_store_b32 v34, v37 offset:40
	s_wait_xcnt 0x0
	s_or_b32 exec_lo, exec_lo, s5
	s_and_saveexec_b32 s5, s2
	s_cbranch_execz .LBB4_28
.LBB4_34:                               ;   in Loop: Header=BB4_29 Depth=1
	scratch_store_b32 v35, v38, off
	s_branch .LBB4_28
.LBB4_35:
	s_or_b32 exec_lo, exec_lo, s3
	s_and_saveexec_b32 s2, s1
	s_cbranch_execz .LBB4_37
; %bb.36:
	v_cmp_gt_f64_e32 vcc_lo, 0, v[0:1]
	v_lshl_add_u32 v0, v39, 2, v134
	v_lshl_add_u32 v1, v33, 2, v134
	;; [unrolled: 1-line block ×3, first 2 shown]
	s_and_b32 s0, s0, vcc_lo
	s_delay_alu instid0(SALU_CYCLE_1) | instskip(NEXT) | instid1(SALU_CYCLE_1)
	s_or_b32 s0, s27, s0
	v_cndmask_b32_e64 v32, v40, -1, s0
	ds_store_b32 v0, v33 offset:40
	ds_store_b32 v1, v36 offset:40
	;; [unrolled: 1-line block ×3, first 2 shown]
.LBB4_37:
	s_or_b32 exec_lo, exec_lo, s2
	scratch_load_b32 v38, off, off
	v_mov_b64_e32 v[32:33], -1
	v_mov_b64_e32 v[34:35], -1
	s_mov_b32 s27, 0
	v_mov_b32_e32 v33, -1
	s_wait_loadcnt 0x0
	v_cmp_eq_u32_e32 vcc_lo, 1, v38
	v_cmp_eq_u32_e64 s0, 7, v38
	v_dual_cndmask_b32 v0, v13, v15 :: v_dual_cndmask_b32 v1, v12, v14
	v_cmp_eq_u32_e32 vcc_lo, 2, v38
	s_delay_alu instid0(VALU_DEP_2) | instskip(SKIP_1) | instid1(VALU_DEP_2)
	v_dual_cndmask_b32 v0, v0, v17 :: v_dual_cndmask_b32 v1, v1, v16
	v_cmp_eq_u32_e32 vcc_lo, 3, v38
	v_dual_cndmask_b32 v0, v0, v19 :: v_dual_cndmask_b32 v1, v1, v18
	v_cmp_eq_u32_e32 vcc_lo, 4, v38
	s_delay_alu instid0(VALU_DEP_2) | instskip(SKIP_1) | instid1(VALU_DEP_2)
	v_dual_cndmask_b32 v0, v0, v21 :: v_dual_cndmask_b32 v1, v1, v20
	v_cmp_eq_u32_e32 vcc_lo, 5, v38
	v_dual_cndmask_b32 v0, v0, v23 :: v_dual_cndmask_b32 v1, v1, v22
	v_cmp_eq_u32_e32 vcc_lo, 6, v38
	s_delay_alu instid0(VALU_DEP_2) | instskip(SKIP_2) | instid1(VALU_DEP_3)
	v_dual_cndmask_b32 v0, v0, v25 :: v_dual_cndmask_b32 v1, v1, v24
	v_mov_b32_e32 v39, -1
	v_cmp_eq_u32_e32 vcc_lo, 8, v38
	v_dual_cndmask_b32 v0, v0, v27, s0 :: v_dual_cndmask_b32 v36, v1, v26, s0
	v_cmp_lt_i32_e64 s0, -1, v38
	s_delay_alu instid0(VALU_DEP_2) | instskip(NEXT) | instid1(VALU_DEP_3)
	v_cndmask_b32_e32 v1, v0, v29, vcc_lo
	v_cndmask_b32_e32 v0, v36, v28, vcc_lo
	s_wait_xcnt 0x0
	s_and_saveexec_b32 s5, s0
	s_cbranch_execz .LBB4_41
; %bb.38:
	s_delay_alu instid0(VALU_DEP_1)
	v_mov_b64_e32 v[36:37], v[0:1]
	v_dual_mov_b32 v39, -1 :: v_dual_mov_b32 v35, v38
	v_dual_mov_b32 v32, -1 :: v_dual_mov_b32 v34, -1
	v_mov_b32_e32 v33, -1
	s_mov_b32 s6, 0
                                        ; implicit-def: $sgpr7
.LBB4_39:                               ; =>This Inner Loop Header: Depth=1
	s_delay_alu instid0(VALU_DEP_3)
	v_lshl_add_u32 v40, v35, 2, v134
	v_cmp_gt_f64_e64 s3, 0, v[36:37]
	ds_load_b32 v42, v40 offset:40
	s_wait_dscnt 0x0
	v_cmp_gt_i32_e32 vcc_lo, 0, v42
	v_cndmask_b32_e32 v43, v42, v38, vcc_lo
	s_delay_alu instid0(VALU_DEP_1) | instskip(NEXT) | instid1(VALU_DEP_1)
	v_cmp_eq_u32_e64 s1, 1, v43
	v_dual_cndmask_b32 v40, v13, v15, s1 :: v_dual_cndmask_b32 v41, v12, v14, s1
	v_cmp_eq_u32_e64 s1, 2, v43
	s_delay_alu instid0(VALU_DEP_1) | instskip(SKIP_1) | instid1(VALU_DEP_1)
	v_dual_cndmask_b32 v40, v40, v17, s1 :: v_dual_cndmask_b32 v41, v41, v16, s1
	v_cmp_eq_u32_e64 s1, 3, v43
	v_dual_cndmask_b32 v40, v40, v19, s1 :: v_dual_cndmask_b32 v41, v41, v18, s1
	v_cmp_eq_u32_e64 s1, 4, v43
	s_delay_alu instid0(VALU_DEP_1) | instskip(SKIP_1) | instid1(VALU_DEP_1)
	v_dual_cndmask_b32 v40, v40, v21, s1 :: v_dual_cndmask_b32 v41, v41, v20, s1
	;; [unrolled: 5-line block ×3, first 2 shown]
	v_cmp_eq_u32_e64 s1, 7, v43
	v_dual_cndmask_b32 v40, v40, v27, s1 :: v_dual_cndmask_b32 v64, v41, v26, s1
	v_cmp_eq_u32_e64 s1, 8, v43
	s_delay_alu instid0(VALU_DEP_1) | instskip(NEXT) | instid1(VALU_DEP_3)
	v_cndmask_b32_e64 v41, v40, v29, s1
	v_cndmask_b32_e64 v40, v64, v28, s1
	v_cmp_le_f64_e64 s1, 0, v[36:37]
	s_delay_alu instid0(VALU_DEP_2) | instskip(SKIP_1) | instid1(SALU_CYCLE_1)
	v_cmp_gt_f64_e64 s2, 0, v[40:41]
	s_and_b32 s1, s1, s2
	v_cndmask_b32_e64 v39, v39, v35, s1
	v_cmp_le_f64_e64 s4, 0, v[40:41]
	v_cndmask_b32_e64 v34, v34, v43, s1
	s_and_b32 s2, s3, s4
	s_or_b32 s6, vcc_lo, s6
	v_cndmask_b32_e64 v33, v33, v43, s2
	v_mov_b64_e32 v[36:37], v[40:41]
	v_dual_cndmask_b32 v32, v32, v35, s2 :: v_dual_mov_b32 v35, v42
	s_and_not1_b32 s1, s7, exec_lo
	s_and_b32 s2, s3, exec_lo
	s_delay_alu instid0(SALU_CYCLE_1)
	s_or_b32 s7, s1, s2
	s_and_not1_b32 exec_lo, exec_lo, s6
	s_cbranch_execnz .LBB4_39
; %bb.40:
	s_or_b32 exec_lo, exec_lo, s6
	s_delay_alu instid0(SALU_CYCLE_1)
	s_and_b32 s27, s7, exec_lo
.LBB4_41:
	s_or_b32 exec_lo, exec_lo, s5
	v_dual_mov_b32 v35, -1 :: v_dual_mov_b32 v36, -1
	v_cmp_lt_i32_e64 s1, -1, v39
	v_mov_b32_e32 v37, -1
	s_and_saveexec_b32 s30, s1
	s_cbranch_execz .LBB4_43
; %bb.42:
	v_cmp_eq_u32_e64 s8, 1, v34
	v_cmp_eq_u32_e64 s9, 2, v34
	;; [unrolled: 1-line block ×5, first 2 shown]
	v_cndmask_b32_e64 v36, v13, v15, s8
	v_cmp_eq_u32_e64 s13, 6, v34
	v_cmp_eq_u32_e64 s14, 7, v34
	;; [unrolled: 1-line block ×3, first 2 shown]
	v_cndmask_b32_e64 v34, v12, v14, s8
	v_cndmask_b32_e64 v36, v36, v17, s9
	v_cmp_eq_u32_e64 s16, 1, v39
	v_cmp_eq_u32_e64 s17, 2, v39
	v_cmp_eq_u32_e64 s18, 3, v39
	s_delay_alu instid0(VALU_DEP_4) | instskip(SKIP_3) | instid1(VALU_DEP_4)
	v_dual_cndmask_b32 v34, v34, v16, s9 :: v_dual_cndmask_b32 v36, v36, v19, s10
	v_cmp_eq_u32_e64 s19, 4, v39
	v_cmp_eq_u32_e64 s20, 5, v39
	v_cmp_eq_u32_e64 s21, 6, v39
	v_dual_cndmask_b32 v34, v34, v18, s10 :: v_dual_cndmask_b32 v36, v36, v21, s11
	v_cmp_eq_u32_e64 s22, 7, v39
	v_cmp_eq_u32_e64 s23, 8, v39
	s_delay_alu instid0(VALU_DEP_3) | instskip(NEXT) | instid1(VALU_DEP_1)
	v_dual_cndmask_b32 v34, v34, v20, s11 :: v_dual_cndmask_b32 v36, v36, v23, s12
	v_dual_cndmask_b32 v34, v34, v22, s12 :: v_dual_cndmask_b32 v36, v36, v25, s13
	s_delay_alu instid0(VALU_DEP_1) | instskip(NEXT) | instid1(VALU_DEP_1)
	v_dual_cndmask_b32 v34, v34, v24, s13 :: v_dual_cndmask_b32 v36, v36, v27, s14
	v_dual_cndmask_b32 v34, v34, v26, s14 :: v_dual_cndmask_b32 v41, v36, v29, s15
	s_delay_alu instid0(VALU_DEP_1) | instskip(NEXT) | instid1(VALU_DEP_1)
	;; [unrolled: 3-line block ×5, first 2 shown]
	v_dual_cndmask_b32 v34, v34, v25, s21 :: v_dual_cndmask_b32 v36, v36, v26, s22
	v_dual_cndmask_b32 v34, v34, v27, s22 :: v_dual_cndmask_b32 v42, v36, v28, s23
	v_add_f64_e64 v[36:37], -v[40:41], 0
	s_delay_alu instid0(VALU_DEP_2) | instskip(NEXT) | instid1(VALU_DEP_1)
	v_dual_cndmask_b32 v43, v34, v29, s23 :: v_dual_cndmask_b32 v34, v117, v115, s16
	v_add_f64_e64 v[64:65], v[42:43], -v[40:41]
	s_delay_alu instid0(VALU_DEP_1) | instskip(NEXT) | instid1(VALU_DEP_1)
	v_div_scale_f64 v[66:67], null, v[64:65], v[64:65], v[36:37]
	v_rcp_f64_e32 v[68:69], v[66:67]
	v_nop
	s_delay_alu instid0(TRANS32_DEP_1) | instskip(NEXT) | instid1(VALU_DEP_1)
	v_fma_f64 v[70:71], -v[66:67], v[68:69], 1.0
	v_fmac_f64_e32 v[68:69], v[68:69], v[70:71]
	s_delay_alu instid0(VALU_DEP_1) | instskip(NEXT) | instid1(VALU_DEP_1)
	v_fma_f64 v[70:71], -v[66:67], v[68:69], 1.0
	v_fmac_f64_e32 v[68:69], v[68:69], v[70:71]
	v_div_scale_f64 v[70:71], vcc_lo, v[36:37], v[64:65], v[36:37]
	s_delay_alu instid0(VALU_DEP_1) | instskip(NEXT) | instid1(VALU_DEP_1)
	v_mul_f64_e32 v[72:73], v[70:71], v[68:69]
	v_fma_f64 v[66:67], -v[66:67], v[72:73], v[70:71]
	s_delay_alu instid0(VALU_DEP_1) | instskip(NEXT) | instid1(VALU_DEP_1)
	v_div_fmas_f64 v[66:67], v[66:67], v[68:69], v[72:73]
	v_div_fixup_f64 v[64:65], v[66:67], v[64:65], v[36:37]
	v_dual_cndmask_b32 v36, v116, v114, s16 :: v_dual_cndmask_b32 v34, v34, v113, s17
	v_cndmask_b32_e64 v66, v116, v114, s8
	s_delay_alu instid0(VALU_DEP_2) | instskip(NEXT) | instid1(VALU_DEP_1)
	v_cndmask_b32_e64 v36, v36, v112, s17
	v_dual_cndmask_b32 v36, v36, v126, s18 :: v_dual_cndmask_b32 v34, v34, v127, s18
	s_delay_alu instid0(VALU_DEP_1) | instskip(NEXT) | instid1(VALU_DEP_1)
	v_dual_cndmask_b32 v36, v36, v128, s19 :: v_dual_cndmask_b32 v34, v34, v129, s19
	v_dual_cndmask_b32 v36, v36, v58, s20 :: v_dual_cndmask_b32 v34, v34, v55, s20
	s_delay_alu instid0(VALU_DEP_1) | instskip(NEXT) | instid1(VALU_DEP_1)
	v_dual_cndmask_b32 v36, v36, v60, s21 :: v_dual_cndmask_b32 v34, v34, v53, s21
	v_cndmask_b32_e64 v36, v36, v62, s22
	v_add_f64_e64 v[68:69], -v[64:65], 1.0
	s_delay_alu instid0(VALU_DEP_2) | instskip(NEXT) | instid1(VALU_DEP_1)
	v_dual_cndmask_b32 v34, v34, v51, s22 :: v_dual_cndmask_b32 v36, v36, v30, s23
	v_cndmask_b32_e64 v37, v34, v31, s23
	v_cndmask_b32_e64 v34, v117, v115, s8
	s_delay_alu instid0(VALU_DEP_1) | instskip(NEXT) | instid1(VALU_DEP_1)
	v_cndmask_b32_e64 v34, v34, v113, s9
	v_cndmask_b32_e64 v34, v34, v127, s10
	s_delay_alu instid0(VALU_DEP_1) | instskip(NEXT) | instid1(VALU_DEP_1)
	v_cndmask_b32_e64 v34, v34, v129, s11
	v_dual_mul_f64 v[40:41], v[40:41], v[68:69] :: v_dual_cndmask_b32 v34, v34, v55, s12
	s_delay_alu instid0(VALU_DEP_1) | instskip(NEXT) | instid1(VALU_DEP_1)
	v_cndmask_b32_e64 v34, v34, v53, s13
	v_cndmask_b32_e64 v34, v34, v51, s14
	s_delay_alu instid0(VALU_DEP_3) | instskip(SKIP_1) | instid1(VALU_DEP_3)
	v_fmac_f64_e32 v[40:41], v[42:43], v[64:65]
	v_cndmask_b32_e64 v66, v66, v112, s9
	v_cndmask_b32_e64 v67, v34, v31, s15
	s_delay_alu instid0(VALU_DEP_2) | instskip(NEXT) | instid1(VALU_DEP_1)
	v_cndmask_b32_e64 v66, v66, v126, s10
	v_cndmask_b32_e64 v66, v66, v128, s11
	s_delay_alu instid0(VALU_DEP_1) | instskip(NEXT) | instid1(VALU_DEP_1)
	v_cndmask_b32_e64 v66, v66, v58, s12
	v_cndmask_b32_e64 v66, v66, v60, s13
	s_delay_alu instid0(VALU_DEP_1) | instskip(NEXT) | instid1(VALU_DEP_1)
	;; [unrolled: 3-line block ×3, first 2 shown]
	v_mul_f64_e32 v[66:67], v[66:67], v[68:69]
	v_fmac_f64_e32 v[66:67], v[36:37], v[64:65]
	scratch_load_b32 v36, off, off offset:4
	s_wait_loadcnt 0x0
	v_cmp_eq_u32_e64 s25, 7, v36
	v_cmp_eq_u32_e64 s2, 5, v36
	;; [unrolled: 1-line block ×5, first 2 shown]
	s_delay_alu instid0(VALU_DEP_4) | instskip(NEXT) | instid1(VALU_DEP_4)
	v_dual_cndmask_b32 v75, v26, v40, s25 :: v_dual_cndmask_b32 v55, v55, v67, s2
	v_cndmask_b32_e64 v72, v112, v66, s4
	s_delay_alu instid0(VALU_DEP_4) | instskip(SKIP_4) | instid1(VALU_DEP_4)
	v_dual_cndmask_b32 v112, v12, v40, s6 :: v_dual_cndmask_b32 v139, v13, v41, s6
	v_dual_cndmask_b32 v13, v110, v108, s8 :: v_dual_cndmask_b32 v12, v111, v109, s8
	v_cmp_eq_u32_e32 vcc_lo, 6, v36
	v_cndmask_b32_e64 v81, v14, v40, s5
	v_dual_cndmask_b32 v73, v114, v66, s5 :: v_dual_cndmask_b32 v138, v15, v41, s5
	v_dual_cndmask_b32 v13, v13, v106, s9 :: v_dual_cndmask_b32 v12, v12, v107, s9
	v_cndmask_b32_e64 v80, v16, v40, s4
	v_cmp_eq_u32_e64 s24, 8, v36
	v_cmp_eq_u32_e64 s3, 3, v36
	s_delay_alu instid0(VALU_DEP_4) | instskip(SKIP_1) | instid1(VALU_DEP_3)
	v_dual_cndmask_b32 v13, v13, v122, s10 :: v_dual_cndmask_b32 v12, v12, v123, s10
	v_dual_cndmask_b32 v53, v53, v67, vcc_lo :: v_dual_cndmask_b32 v51, v51, v67, s25
	v_cndmask_b32_e64 v79, v18, v40, s3
	s_delay_alu instid0(VALU_DEP_3) | instskip(SKIP_2) | instid1(VALU_DEP_3)
	v_dual_cndmask_b32 v13, v13, v124, s11 :: v_dual_cndmask_b32 v12, v12, v125, s11
	v_dual_cndmask_b32 v71, v126, v66, s3 :: v_dual_cndmask_b32 v137, v17, v41, s4
	v_cmp_eq_u32_e64 s7, 4, v36
	v_dual_cndmask_b32 v13, v13, v10, s12 :: v_dual_cndmask_b32 v12, v12, v45, s12
	v_cndmask_b32_e64 v15, v110, v108, s16
	v_dual_cndmask_b32 v58, v58, v66, s2 :: v_dual_cndmask_b32 v136, v19, v41, s3
	s_delay_alu instid0(VALU_DEP_3) | instskip(NEXT) | instid1(VALU_DEP_3)
	v_dual_cndmask_b32 v13, v13, v48, s13 :: v_dual_cndmask_b32 v12, v12, v49, s13
	v_dual_cndmask_b32 v15, v15, v106, s17 :: v_dual_cndmask_b32 v78, v20, v40, s7
	;; [unrolled: 1-line block ×3, first 2 shown]
	s_delay_alu instid0(VALU_DEP_3) | instskip(NEXT) | instid1(VALU_DEP_3)
	v_dual_cndmask_b32 v12, v12, v59, s14 :: v_dual_cndmask_b32 v14, v13, v46, s14
	v_dual_cndmask_b32 v15, v15, v122, s18 :: v_dual_cndmask_b32 v77, v22, v40, s2
	s_delay_alu instid0(VALU_DEP_2) | instskip(NEXT) | instid1(VALU_DEP_3)
	v_dual_cndmask_b32 v140, v31, v67, s24 :: v_dual_cndmask_b32 v13, v12, v57, s15
	v_dual_cndmask_b32 v12, v14, v44, s15 :: v_dual_cndmask_b32 v14, v111, v109, s16
	s_delay_alu instid0(VALU_DEP_3) | instskip(SKIP_1) | instid1(VALU_DEP_3)
	v_dual_cndmask_b32 v15, v15, v124, s19 :: v_dual_cndmask_b32 v34, v30, v66, s24
	v_cndmask_b32_e64 v70, v128, v66, s7
	v_dual_mul_f64 v[12:13], v[12:13], v[68:69] :: v_dual_cndmask_b32 v14, v14, v107, s17
	s_delay_alu instid0(VALU_DEP_3) | instskip(SKIP_1) | instid1(VALU_DEP_2)
	v_dual_cndmask_b32 v15, v15, v10, s20 :: v_dual_cndmask_b32 v76, v24, v40, vcc_lo
	v_dual_cndmask_b32 v128, v23, v41, s2 :: v_dual_cndmask_b32 v126, v25, v41, vcc_lo
	v_dual_cndmask_b32 v14, v14, v123, s18 :: v_dual_cndmask_b32 v15, v15, v48, s21
	v_cndmask_b32_e32 v60, v60, v66, vcc_lo
	v_cndmask_b32_e64 v66, v116, v66, s6
	s_delay_alu instid0(VALU_DEP_3) | instskip(NEXT) | instid1(VALU_DEP_4)
	v_dual_cndmask_b32 v74, v28, v40, s24 :: v_dual_cndmask_b32 v14, v14, v125, s19
	v_cndmask_b32_e64 v16, v15, v46, s22
	v_dual_cndmask_b32 v116, v27, v41, s25 :: v_dual_cndmask_b32 v114, v29, v41, s24
	s_delay_alu instid0(VALU_DEP_3) | instskip(NEXT) | instid1(VALU_DEP_1)
	v_cndmask_b32_e64 v14, v14, v45, s20
	v_cndmask_b32_e64 v14, v14, v49, s21
	s_delay_alu instid0(VALU_DEP_1) | instskip(NEXT) | instid1(VALU_DEP_1)
	v_cndmask_b32_e64 v14, v14, v59, s22
	v_dual_cndmask_b32 v15, v14, v57, s23 :: v_dual_cndmask_b32 v14, v16, v44, s23
	v_cndmask_b32_e64 v16, v120, v118, s16
	s_delay_alu instid0(VALU_DEP_2) | instskip(SKIP_1) | instid1(VALU_DEP_1)
	v_fmac_f64_e32 v[12:13], v[14:15], v[64:65]
	v_cndmask_b32_e64 v14, v120, v118, s8
	v_dual_cndmask_b32 v16, v16, v2, s17 :: v_dual_cndmask_b32 v14, v14, v2, s9
	s_delay_alu instid0(VALU_DEP_1) | instskip(NEXT) | instid1(VALU_DEP_1)
	v_dual_cndmask_b32 v16, v16, v130, s18 :: v_dual_cndmask_b32 v14, v14, v130, s10
	v_dual_cndmask_b32 v16, v16, v132, s19 :: v_dual_cndmask_b32 v14, v14, v132, s11
	s_delay_alu instid0(VALU_DEP_1) | instskip(NEXT) | instid1(VALU_DEP_1)
	v_cndmask_b32_e64 v16, v16, v56, s20
	v_cndmask_b32_e64 v16, v16, v54, s21
	s_delay_alu instid0(VALU_DEP_1)
	v_dual_cndmask_b32 v16, v16, v52, s22 :: v_dual_cndmask_b32 v49, v49, v13, vcc_lo
	v_dual_cndmask_b32 v48, v48, v12, vcc_lo :: v_dual_cndmask_b32 v141, v10, v12, s2
	v_cndmask_b32_e64 v45, v45, v13, s2
	v_cndmask_b32_e64 v10, v121, v119, s8
	v_cmp_eq_u32_e64 s8, 3, v33
	v_dual_cndmask_b32 v110, v110, v12, s6 :: v_dual_cndmask_b32 v123, v123, v13, s3
	v_dual_cndmask_b32 v107, v107, v13, s4 :: v_dual_cndmask_b32 v109, v109, v13, s5
	s_delay_alu instid0(VALU_DEP_4) | instskip(SKIP_3) | instid1(VALU_DEP_4)
	v_cndmask_b32_e64 v10, v10, v3, s9
	v_cmp_eq_u32_e64 s9, 4, v33
	v_dual_cndmask_b32 v44, v44, v12, s24 :: v_dual_cndmask_b32 v46, v46, v12, s25
	v_dual_cndmask_b32 v57, v57, v13, s24 :: v_dual_cndmask_b32 v59, v59, v13, s25
	v_cndmask_b32_e64 v10, v10, v131, s10
	v_cmp_eq_u32_e64 s10, 5, v33
	v_dual_cndmask_b32 v106, v106, v12, s4 :: v_dual_cndmask_b32 v16, v16, v50, s23
	s_delay_alu instid0(VALU_DEP_3) | instskip(SKIP_1) | instid1(VALU_DEP_2)
	v_dual_cndmask_b32 v108, v108, v12, s5 :: v_dual_cndmask_b32 v10, v10, v133, s11
	v_cmp_eq_u32_e64 s11, 6, v33
	v_cndmask_b32_e64 v10, v10, v11, s12
	s_delay_alu instid0(VALU_DEP_1) | instskip(NEXT) | instid1(VALU_DEP_1)
	v_cndmask_b32_e64 v10, v10, v47, s13
	v_cndmask_b32_e64 v10, v10, v63, s14
	s_delay_alu instid0(VALU_DEP_1) | instskip(SKIP_3) | instid1(VALU_DEP_4)
	v_dual_cndmask_b32 v15, v10, v61, s15 :: v_dual_cndmask_b32 v10, v121, v119, s16
	v_cndmask_b32_e64 v14, v14, v56, s12
	v_cmp_eq_u32_e64 s16, 4, v32
	v_cmp_eq_u32_e64 s12, 7, v33
	v_cndmask_b32_e64 v10, v10, v3, s17
	s_delay_alu instid0(VALU_DEP_4) | instskip(SKIP_2) | instid1(VALU_DEP_4)
	v_cndmask_b32_e64 v14, v14, v54, s13
	v_cmp_eq_u32_e64 s17, 5, v32
	v_cmp_eq_u32_e64 s13, 8, v33
	v_cndmask_b32_e64 v10, v10, v131, s18
	s_delay_alu instid0(VALU_DEP_4) | instskip(SKIP_2) | instid1(VALU_DEP_4)
	;; [unrolled: 5-line block ×3, first 2 shown]
	v_cndmask_b32_e64 v14, v14, v50, s15
	v_cmp_eq_u32_e64 s15, 2, v32
	v_cmp_eq_u32_e64 s19, 7, v32
	v_cndmask_b32_e64 v10, v10, v11, s20
	v_cmp_eq_u32_e64 s20, 8, v32
	s_delay_alu instid0(VALU_DEP_2) | instskip(SKIP_3) | instid1(VALU_DEP_4)
	v_cndmask_b32_e64 v10, v10, v47, s21
	v_cmp_eq_u32_e64 s21, 3, v32
	v_mul_f64_e32 v[14:15], v[14:15], v[68:69]
	v_dual_cndmask_b32 v69, v122, v12, s3 :: v_dual_cndmask_b32 v122, v125, v13, s7
	v_cndmask_b32_e64 v10, v10, v63, s22
	v_cmp_eq_u32_e64 s22, 2, v33
	s_delay_alu instid0(VALU_DEP_2) | instskip(SKIP_1) | instid1(VALU_DEP_1)
	v_dual_cndmask_b32 v68, v124, v12, s7 :: v_dual_cndmask_b32 v17, v10, v61, s23
	v_cmp_eq_u32_e64 s23, 1, v33
	v_dual_cndmask_b32 v18, v112, v81, s23 :: v_dual_cndmask_b32 v10, v139, v138, s14
	s_delay_alu instid0(VALU_DEP_1) | instskip(NEXT) | instid1(VALU_DEP_4)
	v_cndmask_b32_e64 v18, v18, v80, s22
	v_fmac_f64_e32 v[14:15], v[16:17], v[64:65]
	v_dual_cndmask_b32 v16, v112, v81, s14 :: v_dual_cndmask_b32 v17, v139, v138, s23
	v_dual_cndmask_b32 v64, v113, v67, s4 :: v_dual_cndmask_b32 v65, v115, v67, s5
	s_delay_alu instid0(VALU_DEP_2) | instskip(NEXT) | instid1(VALU_DEP_3)
	v_dual_cndmask_b32 v111, v111, v13, s6 :: v_dual_cndmask_b32 v16, v16, v80, s15
	v_dual_cndmask_b32 v17, v17, v137, s22 :: v_dual_cndmask_b32 v10, v10, v137, s15
	s_delay_alu instid0(VALU_DEP_2) | instskip(NEXT) | instid1(VALU_DEP_2)
	v_dual_cndmask_b32 v13, v110, v108, s23 :: v_dual_cndmask_b32 v16, v16, v79, s21
	v_dual_cndmask_b32 v17, v17, v136, s8 :: v_dual_cndmask_b32 v10, v10, v136, s21
	s_delay_alu instid0(VALU_DEP_2) | instskip(NEXT) | instid1(VALU_DEP_3)
	v_cndmask_b32_e64 v13, v13, v106, s22
	v_dual_cndmask_b32 v16, v16, v78, s16 :: v_dual_cndmask_b32 v18, v18, v79, s8
	s_delay_alu instid0(VALU_DEP_3) | instskip(NEXT) | instid1(VALU_DEP_2)
	v_dual_cndmask_b32 v10, v10, v135, s16 :: v_dual_cndmask_b32 v17, v17, v135, s9
	v_dual_cndmask_b32 v16, v16, v77, s17 :: v_dual_cndmask_b32 v18, v18, v78, s9
	s_delay_alu instid0(VALU_DEP_2) | instskip(NEXT) | instid1(VALU_DEP_2)
	v_dual_cndmask_b32 v17, v17, v128, s10 :: v_dual_cndmask_b32 v10, v10, v128, s17
	v_dual_cndmask_b32 v16, v16, v76, s18 :: v_dual_cndmask_b32 v18, v18, v77, s10
	s_delay_alu instid0(VALU_DEP_2) | instskip(NEXT) | instid1(VALU_DEP_2)
	v_dual_cndmask_b32 v17, v17, v126, s11 :: v_dual_cndmask_b32 v10, v10, v126, s18
	v_dual_cndmask_b32 v16, v16, v75, s19 :: v_dual_cndmask_b32 v50, v50, v14, s24
	v_cndmask_b32_e32 v54, v54, v14, vcc_lo
	s_delay_alu instid0(VALU_DEP_4) | instskip(NEXT) | instid1(VALU_DEP_4)
	v_cndmask_b32_e64 v18, v18, v76, s11
	v_dual_cndmask_b32 v10, v10, v116, s19 :: v_dual_cndmask_b32 v19, v17, v116, s12
	s_delay_alu instid0(VALU_DEP_4) | instskip(NEXT) | instid1(VALU_DEP_3)
	v_dual_cndmask_b32 v16, v16, v74, s20 :: v_dual_cndmask_b32 v32, v47, v15, vcc_lo
	v_cndmask_b32_e64 v18, v18, v75, s12
	s_delay_alu instid0(VALU_DEP_3) | instskip(SKIP_1) | instid1(VALU_DEP_3)
	v_dual_cndmask_b32 v17, v10, v114, s20 :: v_dual_cndmask_b32 v19, v19, v114, s13
	v_dual_cndmask_b32 v47, v127, v67, s3 :: v_dual_cndmask_b32 v142, v2, v14, s4
	;; [unrolled: 1-line block ×3, first 2 shown]
	s_delay_alu instid0(VALU_DEP_3) | instskip(SKIP_2) | instid1(VALU_DEP_4)
	v_add_f64_e64 v[20:21], -v[16:17], 0
	v_dual_cndmask_b32 v144, v3, v15, s4 :: v_dual_cndmask_b32 v3, v66, v73, s23
	v_dual_cndmask_b32 v119, v119, v15, s5 :: v_dual_cndmask_b32 v11, v66, v73, s14
	v_dual_add_f64 v[22:23], v[18:19], -v[16:17] :: v_dual_cndmask_b32 v132, v132, v14, s7
	v_dual_cndmask_b32 v12, v111, v109, s23 :: v_dual_cndmask_b32 v130, v130, v14, s3
	s_delay_alu instid0(VALU_DEP_3) | instskip(SKIP_2) | instid1(VALU_DEP_3)
	v_dual_cndmask_b32 v120, v120, v14, s6 :: v_dual_cndmask_b32 v11, v11, v72, s15
	v_dual_cndmask_b32 v118, v118, v14, s5 :: v_dual_cndmask_b32 v133, v133, v15, s7
	;; [unrolled: 1-line block ×5, first 2 shown]
	v_cndmask_b32_e64 v63, v63, v15, s25
	v_dual_cndmask_b32 v14, v111, v109, s14 :: v_dual_cndmask_b32 v15, v110, v108, s14
	s_delay_alu instid0(VALU_DEP_1) | instskip(NEXT) | instid1(VALU_DEP_2)
	v_dual_cndmask_b32 v12, v12, v107, s22 :: v_dual_cndmask_b32 v14, v14, v107, s15
	v_cndmask_b32_e64 v15, v15, v106, s15
	v_div_scale_f64 v[24:25], null, v[22:23], v[22:23], v[20:21]
	v_div_scale_f64 v[30:31], vcc_lo, v[20:21], v[22:23], v[20:21]
	s_delay_alu instid0(VALU_DEP_2) | instskip(SKIP_1) | instid1(TRANS32_DEP_1)
	v_rcp_f64_e32 v[26:27], v[24:25]
	v_nop
	v_fma_f64 v[28:29], -v[24:25], v[26:27], 1.0
	s_delay_alu instid0(VALU_DEP_1) | instskip(NEXT) | instid1(VALU_DEP_1)
	v_fmac_f64_e32 v[26:27], v[26:27], v[28:29]
	v_fma_f64 v[28:29], -v[24:25], v[26:27], 1.0
	s_delay_alu instid0(VALU_DEP_1) | instskip(NEXT) | instid1(VALU_DEP_1)
	v_fmac_f64_e32 v[26:27], v[26:27], v[28:29]
	v_mul_f64_e32 v[28:29], v[30:31], v[26:27]
	s_delay_alu instid0(VALU_DEP_1) | instskip(SKIP_2) | instid1(VALU_DEP_1)
	v_fma_f64 v[24:25], -v[24:25], v[28:29], v[30:31]
	v_cndmask_b32_e64 v30, v129, v67, s7
	v_cndmask_b32_e64 v67, v117, v67, s6
	v_dual_cndmask_b32 v2, v67, v65, s23 :: v_dual_cndmask_b32 v10, v67, v65, s14
	s_delay_alu instid0(VALU_DEP_1) | instskip(NEXT) | instid1(VALU_DEP_1)
	v_cndmask_b32_e64 v10, v10, v64, s15
	v_cndmask_b32_e64 v10, v10, v47, s21
	v_div_fmas_f64 v[24:25], v[24:25], v[26:27], v[28:29]
	s_delay_alu instid0(VALU_DEP_4)
	v_cndmask_b32_e64 v27, v2, v64, s22
	v_cndmask_b32_e64 v28, v3, v72, s22
	v_lshl_add_u32 v26, v36, 2, v134
	ds_load_b32 v37, v26 offset:40
	s_wait_dscnt 0x0
	v_cmp_eq_u32_e32 vcc_lo, 8, v37
	v_cmp_eq_u32_e64 s2, 7, v37
	v_cmp_eq_u32_e64 s3, 6, v37
	;; [unrolled: 1-line block ×3, first 2 shown]
	v_div_fixup_f64 v[20:21], v[24:25], v[22:23], v[20:21]
	v_dual_cndmask_b32 v22, v121, v119, s23 :: v_dual_cndmask_b32 v23, v120, v118, s23
	v_dual_cndmask_b32 v24, v121, v119, s14 :: v_dual_cndmask_b32 v25, v120, v118, s14
	v_cndmask_b32_e64 v10, v10, v30, s16
	s_delay_alu instid0(VALU_DEP_3) | instskip(NEXT) | instid1(VALU_DEP_3)
	v_dual_cndmask_b32 v11, v11, v70, s16 :: v_dual_cndmask_b32 v29, v22, v144, s22
	v_dual_cndmask_b32 v22, v24, v144, s15 :: v_dual_cndmask_b32 v31, v23, v142, s22
	s_delay_alu instid0(VALU_DEP_2) | instskip(SKIP_1) | instid1(VALU_DEP_2)
	v_dual_cndmask_b32 v10, v10, v55, s17 :: v_dual_cndmask_b32 v11, v11, v58, s17
	v_dual_cndmask_b32 v23, v25, v142, s15 :: v_dual_cndmask_b32 v24, v27, v47, s8
	;; [unrolled: 1-line block ×3, first 2 shown]
	s_delay_alu instid0(VALU_DEP_3) | instskip(SKIP_1) | instid1(VALU_DEP_3)
	v_dual_cndmask_b32 v11, v11, v60, s18 :: v_dual_cndmask_b32 v27, v12, v123, s8
	v_dual_cndmask_b32 v28, v13, v69, s8 :: v_dual_cndmask_b32 v12, v14, v123, s21
	;; [unrolled: 1-line block ×3, first 2 shown]
	s_delay_alu instid0(VALU_DEP_3) | instskip(NEXT) | instid1(VALU_DEP_2)
	v_dual_cndmask_b32 v13, v11, v62, s19 :: v_dual_cndmask_b32 v15, v22, v131, s21
	v_dual_cndmask_b32 v22, v23, v130, s21 :: v_dual_cndmask_b32 v11, v10, v140, s20
	s_delay_alu instid0(VALU_DEP_3) | instskip(NEXT) | instid1(VALU_DEP_3)
	v_dual_cndmask_b32 v23, v24, v30, s9 :: v_dual_cndmask_b32 v14, v14, v68, s16
	v_cndmask_b32_e64 v10, v13, v34, s20
	s_delay_alu instid0(VALU_DEP_4)
	v_dual_cndmask_b32 v24, v25, v70, s9 :: v_dual_cndmask_b32 v15, v15, v133, s16
	v_cndmask_b32_e64 v25, v12, v122, s16
	v_add_f64_e64 v[2:3], -v[20:21], 1.0
	v_cmp_eq_u32_e64 s5, 4, v37
	v_cmp_eq_u32_e64 s6, 3, v37
	;; [unrolled: 1-line block ×3, first 2 shown]
	v_cndmask_b32_e64 v14, v14, v141, s17
	s_delay_alu instid0(VALU_DEP_1) | instskip(NEXT) | instid1(VALU_DEP_1)
	v_cndmask_b32_e64 v14, v14, v48, s18
	v_cndmask_b32_e64 v14, v14, v46, s19
	s_delay_alu instid0(VALU_DEP_1) | instskip(SKIP_4) | instid1(VALU_DEP_2)
	v_dual_mul_f64 v[12:13], v[16:17], v[2:3] :: v_dual_cndmask_b32 v14, v14, v44, s20
	v_cndmask_b32_e64 v16, v22, v132, s16
	v_mul_f64_e32 v[10:11], v[10:11], v[2:3]
	v_dual_cndmask_b32 v17, v23, v55, s10 :: v_dual_cndmask_b32 v22, v24, v58, s10
	v_dual_cndmask_b32 v23, v25, v45, s17 :: v_dual_cndmask_b32 v15, v15, v143, s17
	;; [unrolled: 1-line block ×3, first 2 shown]
	s_delay_alu instid0(VALU_DEP_2) | instskip(NEXT) | instid1(VALU_DEP_2)
	v_dual_cndmask_b32 v22, v22, v60, s11 :: v_dual_cndmask_b32 v23, v23, v49, s18
	v_dual_cndmask_b32 v15, v15, v32, s18 :: v_dual_cndmask_b32 v16, v16, v54, s18
	s_delay_alu instid0(VALU_DEP_2) | instskip(NEXT) | instid1(VALU_DEP_3)
	v_dual_cndmask_b32 v24, v17, v51, s12 :: v_dual_cndmask_b32 v22, v22, v62, s12
	v_cndmask_b32_e64 v17, v23, v59, s19
	s_delay_alu instid0(VALU_DEP_3) | instskip(NEXT) | instid1(VALU_DEP_2)
	v_dual_cndmask_b32 v23, v15, v63, s19 :: v_dual_cndmask_b32 v16, v16, v52, s19
	v_dual_cndmask_b32 v22, v22, v34, s13 :: v_dual_cndmask_b32 v15, v17, v57, s20
	s_delay_alu instid0(VALU_DEP_2) | instskip(SKIP_1) | instid1(VALU_DEP_3)
	v_dual_cndmask_b32 v17, v23, v61, s20 :: v_dual_cndmask_b32 v16, v16, v50, s20
	v_dual_cndmask_b32 v23, v24, v140, s13 :: v_dual_cndmask_b32 v24, v29, v131, s8
	v_dual_mul_f64 v[40:41], v[14:15], v[2:3] :: v_dual_cndmask_b32 v14, v28, v68, s9
	s_delay_alu instid0(VALU_DEP_3) | instskip(SKIP_1) | instid1(VALU_DEP_4)
	v_mul_f64_e32 v[42:43], v[16:17], v[2:3]
	v_cndmask_b32_e64 v2, v31, v130, s8
	v_dual_cndmask_b32 v3, v27, v122, s9 :: v_dual_cndmask_b32 v15, v24, v133, s9
	s_delay_alu instid0(VALU_DEP_4) | instskip(SKIP_1) | instid1(VALU_DEP_3)
	v_cndmask_b32_e64 v14, v14, v141, s10
	v_fmac_f64_e32 v[12:13], v[18:19], v[20:21]
	v_dual_cndmask_b32 v2, v2, v132, s9 :: v_dual_cndmask_b32 v3, v3, v45, s10
	s_delay_alu instid0(VALU_DEP_3) | instskip(SKIP_1) | instid1(VALU_DEP_3)
	v_dual_cndmask_b32 v15, v15, v143, s10 :: v_dual_cndmask_b32 v14, v14, v48, s11
	v_fmac_f64_e32 v[10:11], v[22:23], v[20:21]
	v_dual_cndmask_b32 v2, v2, v56, s10 :: v_dual_cndmask_b32 v3, v3, v49, s11
	s_delay_alu instid0(VALU_DEP_3) | instskip(SKIP_1) | instid1(VALU_DEP_3)
	v_dual_cndmask_b32 v15, v15, v32, s11 :: v_dual_cndmask_b32 v14, v14, v46, s12
	v_cmp_eq_u32_e64 s8, 1, v37
	v_dual_cndmask_b32 v2, v2, v54, s11 :: v_dual_cndmask_b32 v3, v3, v59, s12
	s_delay_alu instid0(VALU_DEP_3) | instskip(SKIP_1) | instid1(VALU_DEP_3)
	v_cndmask_b32_e64 v15, v15, v63, s12
	v_cmp_eq_u32_e64 s9, 0, v37
	v_dual_cndmask_b32 v16, v2, v52, s12 :: v_dual_cndmask_b32 v3, v3, v57, s13
	s_delay_alu instid0(VALU_DEP_3) | instskip(NEXT) | instid1(VALU_DEP_2)
	v_dual_cndmask_b32 v2, v14, v44, s13 :: v_dual_cndmask_b32 v15, v15, v61, s13
	v_cndmask_b32_e64 v14, v16, v50, s13
	s_delay_alu instid0(VALU_DEP_2) | instskip(SKIP_1) | instid1(VALU_DEP_3)
	v_fmac_f64_e32 v[40:41], v[2:3], v[20:21]
	v_lshl_add_u32 v2, v37, 2, v134
	v_fmac_f64_e32 v[42:43], v[14:15], v[20:21]
	ds_load_b32 v2, v2 offset:40
	v_cndmask_b32_e32 v29, v114, v13, vcc_lo
	v_dual_cndmask_b32 v28, v74, v12, vcc_lo :: v_dual_cndmask_b32 v27, v116, v13, s2
	v_dual_cndmask_b32 v26, v75, v12, s2 :: v_dual_cndmask_b32 v25, v126, v13, s3
	v_dual_cndmask_b32 v53, v53, v11, s3 :: v_dual_cndmask_b32 v31, v140, v11, vcc_lo
	v_dual_cndmask_b32 v51, v51, v11, s2 :: v_dual_cndmask_b32 v24, v76, v12, s3
	v_dual_cndmask_b32 v55, v55, v11, s4 :: v_dual_cndmask_b32 v23, v128, v13, s4
	;; [unrolled: 1-line block ×10, first 2 shown]
	v_cndmask_b32_e64 v128, v70, v10, s5
	s_wait_dscnt 0x0
	scratch_store_b32 off, v2, off offset:4
	v_dual_cndmask_b32 v126, v71, v10, s6 :: v_dual_cndmask_b32 v112, v72, v10, s7
	v_dual_cndmask_b32 v114, v73, v10, s8 :: v_dual_cndmask_b32 v116, v66, v10, s9
	;; [unrolled: 1-line block ×9, first 2 shown]
	s_wait_xcnt 0x0
	v_dual_cndmask_b32 v3, v144, v43, s7 :: v_dual_cndmask_b32 v2, v142, v42, s7
	v_dual_cndmask_b32 v119, v119, v43, s8 :: v_dual_cndmask_b32 v118, v118, v42, s8
	v_dual_cndmask_b32 v121, v121, v43, s9 :: v_dual_cndmask_b32 v120, v120, v42, s9
	v_dual_cndmask_b32 v30, v34, v10, vcc_lo :: v_dual_cndmask_b32 v60, v60, v10, s3
	v_dual_cndmask_b32 v62, v62, v10, s2 :: v_dual_cndmask_b32 v57, v57, v41, vcc_lo
	v_dual_cndmask_b32 v58, v58, v10, s4 :: v_dual_cndmask_b32 v44, v44, v40, vcc_lo
	v_dual_cndmask_b32 v59, v59, v41, s2 :: v_dual_cndmask_b32 v46, v46, v40, s2
	v_dual_cndmask_b32 v49, v49, v41, s3 :: v_dual_cndmask_b32 v48, v48, v40, s3
	v_dual_cndmask_b32 v45, v45, v41, s4 :: v_dual_cndmask_b32 v50, v50, v42, vcc_lo
	v_dual_cndmask_b32 v10, v141, v40, s4 :: v_dual_cndmask_b32 v63, v63, v43, s2
	v_dual_cndmask_b32 v61, v61, v43, vcc_lo :: v_dual_cndmask_b32 v52, v52, v42, s2
	v_dual_cndmask_b32 v47, v32, v43, s3 :: v_dual_cndmask_b32 v54, v54, v42, s3
	v_dual_cndmask_b32 v11, v143, v43, s4 :: v_dual_cndmask_b32 v56, v56, v42, s4
.LBB4_43:
	s_or_b32 exec_lo, exec_lo, s30
	scratch_store_b32 off, v35, off
	s_wait_xcnt 0x0
	s_and_saveexec_b32 s2, s0
	s_cbranch_execz .LBB4_52
; %bb.44:
	s_mov_b32 s3, 0
	s_branch .LBB4_46
.LBB4_45:                               ;   in Loop: Header=BB4_46 Depth=1
	s_wait_xcnt 0x0
	s_or_b32 exec_lo, exec_lo, s5
	s_wait_dscnt 0x0
	v_cmp_gt_i32_e32 vcc_lo, 0, v32
	v_mov_b32_e32 v38, v32
	s_or_b32 s3, vcc_lo, s3
	s_delay_alu instid0(SALU_CYCLE_1)
	s_and_not1_b32 exec_lo, exec_lo, s3
	s_cbranch_execz .LBB4_52
.LBB4_46:                               ; =>This Inner Loop Header: Depth=1
	s_delay_alu instid0(VALU_DEP_1) | instskip(SKIP_3) | instid1(VALU_DEP_2)
	v_cmp_eq_u32_e32 vcc_lo, 1, v38
	s_mov_b32 s4, 0
	v_dual_cndmask_b32 v32, v13, v15, vcc_lo :: v_dual_cndmask_b32 v34, v12, v14, vcc_lo
	v_cmp_eq_u32_e32 vcc_lo, 2, v38
	v_dual_cndmask_b32 v32, v32, v17, vcc_lo :: v_dual_cndmask_b32 v34, v34, v16, vcc_lo
	v_cmp_eq_u32_e32 vcc_lo, 3, v38
	s_delay_alu instid0(VALU_DEP_2) | instskip(SKIP_1) | instid1(VALU_DEP_2)
	v_dual_cndmask_b32 v32, v32, v19, vcc_lo :: v_dual_cndmask_b32 v34, v34, v18, vcc_lo
	v_cmp_eq_u32_e32 vcc_lo, 4, v38
	v_dual_cndmask_b32 v32, v32, v21, vcc_lo :: v_dual_cndmask_b32 v34, v34, v20, vcc_lo
	v_cmp_eq_u32_e32 vcc_lo, 5, v38
	s_delay_alu instid0(VALU_DEP_2) | instskip(SKIP_1) | instid1(VALU_DEP_2)
	;; [unrolled: 5-line block ×3, first 2 shown]
	v_dual_cndmask_b32 v32, v32, v27, vcc_lo :: v_dual_cndmask_b32 v34, v34, v26, vcc_lo
	v_cmp_eq_u32_e32 vcc_lo, 8, v38
	v_dual_cndmask_b32 v35, v32, v29 :: v_dual_cndmask_b32 v34, v34, v28
	s_delay_alu instid0(VALU_DEP_1) | instskip(SKIP_3) | instid1(SALU_CYCLE_1)
	v_cmp_ngt_f64_e32 vcc_lo, 0, v[34:35]
	v_lshl_add_u32 v34, v38, 2, v134
	ds_load_b32 v32, v34 offset:40
	s_and_saveexec_b32 s5, vcc_lo
	s_xor_b32 s5, exec_lo, s5
	s_cbranch_execnz .LBB4_49
; %bb.47:                               ;   in Loop: Header=BB4_46 Depth=1
	s_or_saveexec_b32 s5, s5
	v_mov_b32_e32 v35, 0
	s_xor_b32 exec_lo, exec_lo, s5
	s_cbranch_execnz .LBB4_50
.LBB4_48:                               ;   in Loop: Header=BB4_46 Depth=1
	s_or_b32 exec_lo, exec_lo, s5
	s_and_saveexec_b32 s5, s4
	s_cbranch_execz .LBB4_45
	s_branch .LBB4_51
.LBB4_49:                               ;   in Loop: Header=BB4_46 Depth=1
	scratch_load_b32 v34, off, off
	s_wait_loadcnt 0x0
	v_cmp_eq_u32_e32 vcc_lo, -1, v34
                                        ; implicit-def: $vgpr34
	s_and_b32 s4, vcc_lo, exec_lo
	s_wait_xcnt 0x0
	s_or_saveexec_b32 s5, s5
	v_mov_b32_e32 v35, 0
	s_xor_b32 exec_lo, exec_lo, s5
	s_cbranch_execz .LBB4_48
.LBB4_50:                               ;   in Loop: Header=BB4_46 Depth=1
	scratch_load_b32 v40, off, off offset:4
	v_mov_b32_e32 v35, 4
	s_or_b32 s4, s4, exec_lo
	s_wait_loadcnt 0x0
	ds_store_b32 v34, v40 offset:40
	s_wait_xcnt 0x0
	s_or_b32 exec_lo, exec_lo, s5
	s_and_saveexec_b32 s5, s4
	s_cbranch_execz .LBB4_45
.LBB4_51:                               ;   in Loop: Header=BB4_46 Depth=1
	scratch_store_b32 v35, v38, off
	s_branch .LBB4_45
.LBB4_52:
	s_or_b32 exec_lo, exec_lo, s2
	s_and_saveexec_b32 s2, s1
	s_cbranch_execz .LBB4_54
; %bb.53:
	v_cmp_gt_f64_e32 vcc_lo, 0, v[0:1]
	v_lshl_add_u32 v0, v39, 2, v134
	v_lshl_add_u32 v1, v36, 2, v134
	s_and_b32 s0, s0, vcc_lo
	s_delay_alu instid0(SALU_CYCLE_1) | instskip(NEXT) | instid1(SALU_CYCLE_1)
	s_or_b32 s0, s27, s0
	v_cndmask_b32_e64 v32, v33, -1, s0
	v_lshl_add_u32 v33, v37, 2, v134
	ds_store_b32 v0, v36 offset:40
	ds_store_b32 v1, v37 offset:40
	;; [unrolled: 1-line block ×3, first 2 shown]
.LBB4_54:
	s_or_b32 exec_lo, exec_lo, s2
	scratch_load_b32 v38, off, off
	v_mov_b64_e32 v[34:35], -1
	s_mov_b32 s27, 0
	v_dual_mov_b32 v39, -1 :: v_dual_mov_b32 v40, -1
	s_wait_loadcnt 0x0
	v_cmp_eq_u32_e32 vcc_lo, 1, v38
	v_cmp_eq_u32_e64 s0, 2, v38
	v_dual_cndmask_b32 v0, v111, v109 :: v_dual_cndmask_b32 v1, v110, v108
	v_cmp_eq_u32_e32 vcc_lo, 3, v38
	s_delay_alu instid0(VALU_DEP_2) | instskip(SKIP_1) | instid1(VALU_DEP_2)
	v_dual_cndmask_b32 v0, v0, v107, s0 :: v_dual_cndmask_b32 v1, v1, v106, s0
	v_cmp_lt_i32_e64 s0, -1, v38
	v_dual_cndmask_b32 v0, v0, v123 :: v_dual_cndmask_b32 v1, v1, v122
	v_cmp_eq_u32_e32 vcc_lo, 4, v38
	s_delay_alu instid0(VALU_DEP_2) | instskip(SKIP_1) | instid1(VALU_DEP_2)
	v_dual_cndmask_b32 v0, v0, v125 :: v_dual_cndmask_b32 v1, v1, v124
	v_cmp_eq_u32_e32 vcc_lo, 5, v38
	v_dual_cndmask_b32 v0, v0, v45 :: v_dual_cndmask_b32 v1, v1, v10
	v_cmp_eq_u32_e32 vcc_lo, 6, v38
	s_delay_alu instid0(VALU_DEP_2) | instskip(SKIP_1) | instid1(VALU_DEP_2)
	v_dual_cndmask_b32 v0, v0, v49 :: v_dual_cndmask_b32 v1, v1, v48
	v_cmp_eq_u32_e32 vcc_lo, 7, v38
	v_dual_cndmask_b32 v0, v0, v59, vcc_lo :: v_dual_cndmask_b32 v32, v1, v46, vcc_lo
	v_cmp_eq_u32_e32 vcc_lo, 8, v38
	s_delay_alu instid0(VALU_DEP_2) | instskip(NEXT) | instid1(VALU_DEP_3)
	v_cndmask_b32_e32 v1, v0, v57, vcc_lo
	v_cndmask_b32_e32 v0, v32, v44, vcc_lo
	v_mov_b64_e32 v[32:33], -1
	s_wait_xcnt 0x0
	s_and_saveexec_b32 s5, s0
	s_cbranch_execz .LBB4_58
; %bb.55:
	v_mov_b64_e32 v[36:37], v[0:1]
	v_dual_mov_b32 v39, -1 :: v_dual_mov_b32 v33, v38
	v_dual_mov_b32 v32, -1 :: v_dual_mov_b32 v34, -1
	v_mov_b32_e32 v40, -1
	s_mov_b32 s6, 0
                                        ; implicit-def: $sgpr7
.LBB4_56:                               ; =>This Inner Loop Header: Depth=1
	s_delay_alu instid0(VALU_DEP_3)
	v_lshl_add_u32 v35, v33, 2, v134
	v_cmp_le_f64_e32 vcc_lo, 0, v[36:37]
	v_cmp_gt_f64_e64 s1, 0, v[36:37]
	ds_load_b32 v35, v35 offset:40
	s_wait_dscnt 0x0
	v_cmp_gt_i32_e64 s2, 0, v35
	s_delay_alu instid0(VALU_DEP_1) | instskip(NEXT) | instid1(VALU_DEP_1)
	v_cndmask_b32_e64 v41, v35, v38, s2
	v_cmp_eq_u32_e64 s3, 1, v41
	v_cmp_eq_u32_e64 s4, 2, v41
	s_delay_alu instid0(VALU_DEP_2) | instskip(NEXT) | instid1(VALU_DEP_1)
	v_dual_cndmask_b32 v36, v111, v109, s3 :: v_dual_cndmask_b32 v37, v110, v108, s3
	v_cndmask_b32_e64 v36, v36, v107, s4
	v_cmp_eq_u32_e64 s3, 3, v41
	s_delay_alu instid0(VALU_DEP_1) | instskip(NEXT) | instid1(VALU_DEP_1)
	v_dual_cndmask_b32 v37, v37, v106, s4 :: v_dual_cndmask_b32 v36, v36, v123, s3
	v_cndmask_b32_e64 v37, v37, v122, s3
	v_cmp_eq_u32_e64 s3, 4, v41
	s_delay_alu instid0(VALU_DEP_1) | instskip(SKIP_1) | instid1(VALU_DEP_1)
	v_dual_cndmask_b32 v36, v36, v125, s3 :: v_dual_cndmask_b32 v37, v37, v124, s3
	v_cmp_eq_u32_e64 s3, 5, v41
	v_dual_cndmask_b32 v36, v36, v45, s3 :: v_dual_cndmask_b32 v37, v37, v10, s3
	v_cmp_eq_u32_e64 s3, 6, v41
	s_delay_alu instid0(VALU_DEP_1) | instskip(SKIP_1) | instid1(VALU_DEP_1)
	v_dual_cndmask_b32 v36, v36, v49, s3 :: v_dual_cndmask_b32 v37, v37, v48, s3
	v_cmp_eq_u32_e64 s3, 7, v41
	v_dual_cndmask_b32 v36, v36, v59, s3 :: v_dual_cndmask_b32 v42, v37, v46, s3
	v_cmp_eq_u32_e64 s3, 8, v41
	s_delay_alu instid0(VALU_DEP_1) | instskip(NEXT) | instid1(VALU_DEP_1)
	v_dual_cndmask_b32 v37, v36, v57, s3 :: v_dual_cndmask_b32 v36, v42, v44, s3
	v_cmp_gt_f64_e64 s3, 0, v[36:37]
	v_cmp_le_f64_e64 s4, 0, v[36:37]
	s_and_b32 vcc_lo, vcc_lo, s3
	s_and_b32 s3, s1, s4
	s_delay_alu instid0(SALU_CYCLE_1)
	v_dual_cndmask_b32 v34, v34, v41, vcc_lo :: v_dual_cndmask_b32 v40, v40, v41, s3
	v_dual_cndmask_b32 v39, v39, v33, vcc_lo :: v_dual_cndmask_b32 v32, v32, v33, s3
	s_or_b32 s6, s2, s6
	v_mov_b32_e32 v33, v35
	s_and_not1_b32 s2, s7, exec_lo
	s_and_b32 s1, s1, exec_lo
	s_delay_alu instid0(SALU_CYCLE_1)
	s_or_b32 s7, s2, s1
	s_and_not1_b32 exec_lo, exec_lo, s6
	s_cbranch_execnz .LBB4_56
; %bb.57:
	s_or_b32 exec_lo, exec_lo, s6
	s_delay_alu instid0(SALU_CYCLE_1)
	s_and_b32 s27, s7, exec_lo
.LBB4_58:
	s_or_b32 exec_lo, exec_lo, s5
	v_dual_mov_b32 v33, -1 :: v_dual_mov_b32 v35, -1
	v_cmp_lt_i32_e64 s1, -1, v39
	v_mov_b32_e32 v36, -1
	s_and_saveexec_b32 s30, s1
	s_cbranch_execz .LBB4_60
; %bb.59:
	v_cmp_eq_u32_e64 s2, 1, v34
	v_cmp_eq_u32_e64 s3, 2, v34
	;; [unrolled: 1-line block ×5, first 2 shown]
	v_cndmask_b32_e64 v35, v111, v109, s2
	v_cmp_eq_u32_e64 s7, 6, v34
	v_cmp_eq_u32_e64 s8, 7, v34
	;; [unrolled: 1-line block ×3, first 2 shown]
	s_delay_alu instid0(VALU_DEP_4) | instskip(SKIP_3) | instid1(VALU_DEP_4)
	v_dual_cndmask_b32 v34, v110, v108, s2 :: v_dual_cndmask_b32 v35, v35, v107, s3
	v_cmp_eq_u32_e64 s10, 1, v39
	v_cmp_eq_u32_e64 s11, 2, v39
	;; [unrolled: 1-line block ×3, first 2 shown]
	v_dual_cndmask_b32 v34, v34, v106, s3 :: v_dual_cndmask_b32 v35, v35, v123, s4
	v_cmp_eq_u32_e64 s13, 4, v39
	v_cmp_eq_u32_e64 s15, 5, v39
	;; [unrolled: 1-line block ×3, first 2 shown]
	s_delay_alu instid0(VALU_DEP_4) | instskip(SKIP_2) | instid1(VALU_DEP_3)
	v_dual_cndmask_b32 v34, v34, v122, s4 :: v_dual_cndmask_b32 v35, v35, v125, s5
	v_cmp_eq_u32_e64 s17, 7, v39
	v_cmp_eq_u32_e64 s18, 8, v39
	v_dual_cndmask_b32 v34, v34, v124, s5 :: v_dual_cndmask_b32 v35, v35, v45, s6
	s_delay_alu instid0(VALU_DEP_1) | instskip(NEXT) | instid1(VALU_DEP_1)
	v_dual_cndmask_b32 v34, v34, v10, s6 :: v_dual_cndmask_b32 v35, v35, v49, s7
	v_dual_cndmask_b32 v34, v34, v48, s7 :: v_dual_cndmask_b32 v35, v35, v59, s8
	s_delay_alu instid0(VALU_DEP_1) | instskip(SKIP_1) | instid1(VALU_DEP_2)
	v_dual_cndmask_b32 v34, v34, v46, s8 :: v_dual_cndmask_b32 v37, v35, v57, s9
	v_cndmask_b32_e64 v35, v110, v108, s10
	v_dual_cndmask_b32 v36, v34, v44, s9 :: v_dual_cndmask_b32 v34, v111, v109, s10
	s_delay_alu instid0(VALU_DEP_1) | instskip(NEXT) | instid1(VALU_DEP_1)
	v_dual_cndmask_b32 v35, v35, v106, s11 :: v_dual_cndmask_b32 v34, v34, v107, s11
	v_dual_cndmask_b32 v35, v35, v122, s12 :: v_dual_cndmask_b32 v34, v34, v123, s12
	s_delay_alu instid0(VALU_DEP_1) | instskip(NEXT) | instid1(VALU_DEP_1)
	v_dual_cndmask_b32 v35, v35, v124, s13 :: v_dual_cndmask_b32 v34, v34, v125, s13
	;; [unrolled: 3-line block ×3, first 2 shown]
	v_dual_cndmask_b32 v35, v35, v46, s17 :: v_dual_cndmask_b32 v34, v34, v59, s17
	s_delay_alu instid0(VALU_DEP_1) | instskip(SKIP_1) | instid1(VALU_DEP_2)
	v_dual_cndmask_b32 v42, v35, v44, s18 :: v_dual_cndmask_b32 v43, v34, v57, s18
	v_add_f64_e64 v[34:35], -v[36:37], 0
	v_add_f64_e64 v[64:65], v[42:43], -v[36:37]
	s_delay_alu instid0(VALU_DEP_1) | instskip(NEXT) | instid1(VALU_DEP_1)
	v_div_scale_f64 v[66:67], null, v[64:65], v[64:65], v[34:35]
	v_rcp_f64_e32 v[68:69], v[66:67]
	v_nop
	s_delay_alu instid0(TRANS32_DEP_1) | instskip(NEXT) | instid1(VALU_DEP_1)
	v_fma_f64 v[70:71], -v[66:67], v[68:69], 1.0
	v_fmac_f64_e32 v[68:69], v[68:69], v[70:71]
	s_delay_alu instid0(VALU_DEP_1) | instskip(NEXT) | instid1(VALU_DEP_1)
	v_fma_f64 v[70:71], -v[66:67], v[68:69], 1.0
	v_fmac_f64_e32 v[68:69], v[68:69], v[70:71]
	v_div_scale_f64 v[70:71], vcc_lo, v[34:35], v[64:65], v[34:35]
	s_delay_alu instid0(VALU_DEP_1) | instskip(NEXT) | instid1(VALU_DEP_1)
	v_mul_f64_e32 v[72:73], v[70:71], v[68:69]
	v_fma_f64 v[66:67], -v[66:67], v[72:73], v[70:71]
	s_delay_alu instid0(VALU_DEP_1) | instskip(NEXT) | instid1(VALU_DEP_1)
	v_div_fmas_f64 v[66:67], v[66:67], v[68:69], v[72:73]
	v_div_fixup_f64 v[64:65], v[66:67], v[64:65], v[34:35]
	v_dual_cndmask_b32 v34, v117, v115, s10 :: v_dual_cndmask_b32 v35, v116, v114, s10
	s_delay_alu instid0(VALU_DEP_1) | instskip(NEXT) | instid1(VALU_DEP_1)
	v_dual_cndmask_b32 v66, v116, v114, s2 :: v_dual_cndmask_b32 v34, v34, v113, s11
	v_dual_cndmask_b32 v35, v35, v112, s11 :: v_dual_cndmask_b32 v34, v34, v127, s12
	s_delay_alu instid0(VALU_DEP_1) | instskip(NEXT) | instid1(VALU_DEP_1)
	v_dual_cndmask_b32 v35, v35, v126, s12 :: v_dual_cndmask_b32 v34, v34, v129, s13
	;; [unrolled: 3-line block ×3, first 2 shown]
	v_dual_cndmask_b32 v35, v35, v60, s16 :: v_dual_cndmask_b32 v34, v34, v51, s17
	s_delay_alu instid0(VALU_DEP_1) | instskip(SKIP_1) | instid1(VALU_DEP_2)
	v_cndmask_b32_e64 v41, v35, v62, s17
	v_add_f64_e64 v[68:69], -v[64:65], 1.0
	v_dual_cndmask_b32 v35, v34, v31, s18 :: v_dual_cndmask_b32 v34, v41, v30, s18
	v_cndmask_b32_e64 v41, v117, v115, s2
	s_delay_alu instid0(VALU_DEP_1) | instskip(NEXT) | instid1(VALU_DEP_1)
	v_dual_cndmask_b32 v41, v41, v113, s3 :: v_dual_cndmask_b32 v66, v66, v112, s3
	v_dual_cndmask_b32 v41, v41, v127, s4 :: v_dual_cndmask_b32 v66, v66, v126, s4
	s_delay_alu instid0(VALU_DEP_1) | instskip(NEXT) | instid1(VALU_DEP_1)
	v_dual_cndmask_b32 v41, v41, v129, s5 :: v_dual_cndmask_b32 v66, v66, v128, s5
	v_dual_cndmask_b32 v41, v41, v55, s6 :: v_dual_cndmask_b32 v66, v66, v58, s6
	;; [unrolled: 3-line block ×3, first 2 shown]
	s_delay_alu instid0(VALU_DEP_1) | instskip(NEXT) | instid1(VALU_DEP_1)
	v_dual_cndmask_b32 v67, v41, v31, s9 :: v_dual_cndmask_b32 v66, v66, v30, s9
	v_mul_f64_e32 v[66:67], v[66:67], v[68:69]
	s_delay_alu instid0(VALU_DEP_1)
	v_fmac_f64_e32 v[66:67], v[34:35], v[64:65]
	scratch_load_b32 v35, off, off offset:4
	s_wait_loadcnt 0x0
	v_cmp_eq_u32_e64 s24, 8, v35
	v_cmp_eq_u32_e32 vcc_lo, 6, v35
	v_cmp_eq_u32_e64 s25, 7, v35
	v_cmp_eq_u32_e64 s14, 5, v35
	;; [unrolled: 1-line block ×3, first 2 shown]
	v_dual_cndmask_b32 v30, v30, v66, s24 :: v_dual_cndmask_b32 v41, v60, v66, vcc_lo
	s_delay_alu instid0(VALU_DEP_4) | instskip(SKIP_3) | instid1(VALU_DEP_4)
	v_dual_cndmask_b32 v60, v13, v15, s2 :: v_dual_cndmask_b32 v34, v62, v66, s25
	v_cndmask_b32_e64 v62, v12, v14, s2
	v_cmp_eq_u32_e64 s19, 3, v35
	v_cmp_eq_u32_e64 s20, 2, v35
	v_dual_cndmask_b32 v60, v60, v17, s3 :: v_dual_cndmask_b32 v58, v58, v66, s14
	v_cmp_eq_u32_e64 s21, 1, v35
	v_cmp_eq_u32_e64 s22, 0, v35
	v_cndmask_b32_e64 v51, v51, v67, s25
	s_delay_alu instid0(VALU_DEP_4) | instskip(SKIP_1) | instid1(VALU_DEP_4)
	v_dual_cndmask_b32 v60, v60, v19, s4 :: v_dual_cndmask_b32 v62, v62, v16, s3
	v_dual_cndmask_b32 v31, v31, v67, s24 :: v_dual_cndmask_b32 v53, v53, v67, vcc_lo
	v_cndmask_b32_e64 v74, v116, v66, s22
	s_delay_alu instid0(VALU_DEP_3) | instskip(SKIP_1) | instid1(VALU_DEP_2)
	v_dual_cndmask_b32 v60, v60, v21, s5 :: v_dual_cndmask_b32 v62, v62, v18, s4
	v_cndmask_b32_e64 v115, v115, v67, s21
	v_dual_cndmask_b32 v60, v60, v23, s6 :: v_dual_cndmask_b32 v62, v62, v20, s5
	s_delay_alu instid0(VALU_DEP_1) | instskip(NEXT) | instid1(VALU_DEP_1)
	v_dual_cndmask_b32 v60, v60, v25, s7 :: v_dual_cndmask_b32 v62, v62, v22, s6
	v_dual_cndmask_b32 v60, v60, v27, s8 :: v_dual_cndmask_b32 v62, v62, v24, s7
	s_delay_alu instid0(VALU_DEP_1) | instskip(NEXT) | instid1(VALU_DEP_1)
	v_dual_cndmask_b32 v71, v60, v29, s9 :: v_dual_cndmask_b32 v62, v62, v26, s8
	v_dual_cndmask_b32 v60, v13, v15, s10 :: v_dual_cndmask_b32 v70, v62, v28, s9
	s_delay_alu instid0(VALU_DEP_1) | instskip(NEXT) | instid1(VALU_DEP_2)
	v_cndmask_b32_e64 v60, v60, v17, s11
	v_dual_mul_f64 v[70:71], v[70:71], v[68:69] :: v_dual_cndmask_b32 v62, v12, v14, s10
	s_delay_alu instid0(VALU_DEP_1) | instskip(NEXT) | instid1(VALU_DEP_1)
	v_dual_cndmask_b32 v60, v60, v19, s12 :: v_dual_cndmask_b32 v62, v62, v16, s11
	v_dual_cndmask_b32 v60, v60, v21, s13 :: v_dual_cndmask_b32 v62, v62, v18, s12
	s_delay_alu instid0(VALU_DEP_1) | instskip(NEXT) | instid1(VALU_DEP_1)
	v_dual_cndmask_b32 v60, v60, v23, s15 :: v_dual_cndmask_b32 v62, v62, v20, s13
	v_dual_cndmask_b32 v60, v60, v25, s16 :: v_dual_cndmask_b32 v62, v62, v22, s15
	;; [unrolled: 3-line block ×3, first 2 shown]
	s_delay_alu instid0(VALU_DEP_1) | instskip(SKIP_1) | instid1(VALU_DEP_2)
	v_dual_cndmask_b32 v60, v128, v66, s23 :: v_dual_cndmask_b32 v72, v62, v28, s18
	v_cndmask_b32_e64 v62, v126, v66, s19
	v_fmac_f64_e32 v[70:71], v[72:73], v[64:65]
	v_dual_cndmask_b32 v72, v112, v66, s20 :: v_dual_cndmask_b32 v73, v114, v66, s21
	s_delay_alu instid0(VALU_DEP_2)
	v_dual_cndmask_b32 v75, v28, v70, s24 :: v_dual_cndmask_b32 v76, v26, v70, s25
	v_dual_cndmask_b32 v77, v24, v70, vcc_lo :: v_dual_cndmask_b32 v78, v22, v70, s14
	v_dual_cndmask_b32 v79, v20, v70, s23 :: v_dual_cndmask_b32 v80, v18, v70, s19
	v_dual_cndmask_b32 v81, v16, v70, s20 :: v_dual_cndmask_b32 v112, v14, v70, s21
	;; [unrolled: 1-line block ×3, first 2 shown]
	v_dual_cndmask_b32 v116, v27, v71, s25 :: v_dual_cndmask_b32 v126, v25, v71, vcc_lo
	v_dual_cndmask_b32 v128, v23, v71, s14 :: v_dual_cndmask_b32 v135, v21, v71, s23
	v_dual_cndmask_b32 v136, v19, v71, s19 :: v_dual_cndmask_b32 v137, v17, v71, s20
	v_dual_cndmask_b32 v138, v15, v71, s21 :: v_dual_cndmask_b32 v71, v13, v71, s22
	v_mul_f64_e32 v[12:13], v[36:37], v[68:69]
	v_dual_cndmask_b32 v14, v120, v118, s2 :: v_dual_cndmask_b32 v16, v120, v118, s10
	s_delay_alu instid0(VALU_DEP_1) | instskip(NEXT) | instid1(VALU_DEP_1)
	v_dual_cndmask_b32 v14, v14, v2, s3 :: v_dual_cndmask_b32 v16, v16, v2, s11
	v_cndmask_b32_e64 v16, v16, v130, s12
	s_delay_alu instid0(VALU_DEP_1) | instskip(NEXT) | instid1(VALU_DEP_1)
	v_cndmask_b32_e64 v16, v16, v132, s13
	v_cndmask_b32_e64 v16, v16, v56, s15
	s_delay_alu instid0(VALU_DEP_1) | instskip(SKIP_1) | instid1(VALU_DEP_2)
	v_cndmask_b32_e64 v16, v16, v54, s16
	v_fmac_f64_e32 v[12:13], v[42:43], v[64:65]
	v_dual_cndmask_b32 v16, v16, v52, s17 :: v_dual_cndmask_b32 v55, v55, v67, s14
	s_delay_alu instid0(VALU_DEP_1) | instskip(NEXT) | instid1(VALU_DEP_3)
	v_dual_cndmask_b32 v16, v16, v50, s18 :: v_dual_cndmask_b32 v139, v10, v12, s14
	v_cndmask_b32_e64 v57, v57, v13, s24
	v_cndmask_b32_e64 v10, v121, v119, s2
	v_dual_cndmask_b32 v140, v45, v13, s14 :: v_dual_cndmask_b32 v106, v106, v12, s20
	v_dual_cndmask_b32 v107, v107, v13, s20 :: v_dual_cndmask_b32 v108, v108, v12, s21
	s_delay_alu instid0(VALU_DEP_3) | instskip(SKIP_2) | instid1(VALU_DEP_3)
	v_dual_cndmask_b32 v10, v10, v3, s3 :: v_dual_cndmask_b32 v109, v109, v13, s21
	v_dual_cndmask_b32 v111, v111, v13, s22 :: v_dual_cndmask_b32 v37, v44, v12, s24
	v_dual_cndmask_b32 v46, v46, v12, s25 :: v_dual_cndmask_b32 v48, v48, v12, vcc_lo
	v_dual_cndmask_b32 v10, v10, v131, s4 :: v_dual_cndmask_b32 v59, v59, v13, s25
	v_dual_cndmask_b32 v49, v49, v13, vcc_lo :: v_dual_cndmask_b32 v123, v123, v13, s19
	v_cmp_eq_u32_e64 s2, 3, v40
	s_delay_alu instid0(VALU_DEP_3) | instskip(SKIP_1) | instid1(VALU_DEP_2)
	v_cndmask_b32_e64 v10, v10, v133, s5
	v_cmp_eq_u32_e64 s3, 4, v40
	v_cndmask_b32_e64 v10, v10, v11, s6
	s_delay_alu instid0(VALU_DEP_1) | instskip(NEXT) | instid1(VALU_DEP_1)
	v_cndmask_b32_e64 v10, v10, v47, s7
	v_cndmask_b32_e64 v10, v10, v63, s8
	s_delay_alu instid0(VALU_DEP_1) | instskip(SKIP_3) | instid1(VALU_DEP_4)
	v_dual_cndmask_b32 v15, v10, v61, s9 :: v_dual_cndmask_b32 v10, v121, v119, s10
	v_cndmask_b32_e64 v14, v14, v130, s4
	v_cmp_eq_u32_e64 s10, 5, v32
	v_cmp_eq_u32_e64 s4, 5, v40
	v_cndmask_b32_e64 v10, v10, v3, s11
	s_delay_alu instid0(VALU_DEP_4) | instskip(SKIP_2) | instid1(VALU_DEP_4)
	v_cndmask_b32_e64 v14, v14, v132, s5
	v_cmp_eq_u32_e64 s11, 6, v32
	v_cmp_eq_u32_e64 s5, 6, v40
	v_cndmask_b32_e64 v10, v10, v131, s12
	s_delay_alu instid0(VALU_DEP_4) | instskip(SKIP_2) | instid1(VALU_DEP_4)
	;; [unrolled: 5-line block ×3, first 2 shown]
	v_cndmask_b32_e64 v14, v14, v54, s7
	v_cmp_eq_u32_e64 s13, 8, v32
	v_cmp_eq_u32_e64 s7, 8, v40
	v_cndmask_b32_e64 v10, v10, v11, s15
	s_delay_alu instid0(VALU_DEP_4)
	v_cndmask_b32_e64 v14, v14, v52, s8
	v_cmp_eq_u32_e64 s8, 1, v32
	v_cndmask_b32_e64 v110, v110, v12, s22
	v_cmp_eq_u32_e64 s15, 3, v32
	v_cndmask_b32_e64 v10, v10, v47, s16
	v_cndmask_b32_e64 v14, v14, v50, s9
	v_cmp_eq_u32_e64 s16, 2, v32
	v_cmp_eq_u32_e64 s9, 4, v32
	s_delay_alu instid0(VALU_DEP_3) | instskip(SKIP_3) | instid1(VALU_DEP_2)
	v_mul_f64_e32 v[14:15], v[14:15], v[68:69]
	v_dual_cndmask_b32 v69, v122, v12, s19 :: v_dual_cndmask_b32 v122, v125, v13, s23
	v_dual_cndmask_b32 v10, v10, v63, s17 :: v_dual_cndmask_b32 v68, v124, v12, s23
	v_cmp_eq_u32_e64 s17, 2, v40
	v_dual_cndmask_b32 v124, v127, v67, s19 :: v_dual_cndmask_b32 v17, v10, v61, s18
	v_cmp_eq_u32_e64 s18, 1, v40
	v_dual_cndmask_b32 v10, v111, v109, s8 :: v_dual_cndmask_b32 v12, v110, v108, s8
	s_delay_alu instid0(VALU_DEP_1) | instskip(NEXT) | instid1(VALU_DEP_1)
	v_dual_cndmask_b32 v13, v111, v109, s18 :: v_dual_cndmask_b32 v10, v10, v107, s16
	v_dual_cndmask_b32 v12, v12, v106, s16 :: v_dual_cndmask_b32 v10, v10, v123, s15
	s_delay_alu instid0(VALU_DEP_1) | instskip(NEXT) | instid1(VALU_DEP_1)
	v_dual_cndmask_b32 v12, v12, v69, s15 :: v_dual_cndmask_b32 v10, v10, v122, s9
	v_cndmask_b32_e64 v12, v12, v68, s9
	s_delay_alu instid0(VALU_DEP_1) | instskip(SKIP_2) | instid1(VALU_DEP_3)
	v_dual_cndmask_b32 v10, v10, v140, s10 :: v_dual_cndmask_b32 v12, v12, v139, s10
	v_fmac_f64_e32 v[14:15], v[16:17], v[64:65]
	v_dual_cndmask_b32 v16, v110, v108, s18 :: v_dual_cndmask_b32 v13, v13, v107, s17
	v_dual_cndmask_b32 v10, v10, v49, s11 :: v_dual_cndmask_b32 v12, v12, v48, s11
	s_delay_alu instid0(VALU_DEP_2) | instskip(NEXT) | instid1(VALU_DEP_3)
	v_dual_cndmask_b32 v117, v117, v67, s22 :: v_dual_cndmask_b32 v16, v16, v106, s17
	v_cndmask_b32_e64 v13, v13, v123, s2
	s_delay_alu instid0(VALU_DEP_3) | instskip(NEXT) | instid1(VALU_DEP_3)
	v_dual_cndmask_b32 v10, v10, v59, s12 :: v_dual_cndmask_b32 v12, v12, v46, s12
	v_dual_cndmask_b32 v113, v113, v67, s20 :: v_dual_cndmask_b32 v16, v16, v69, s2
	s_delay_alu instid0(VALU_DEP_2) | instskip(NEXT) | instid1(VALU_DEP_2)
	v_dual_cndmask_b32 v13, v13, v122, s3 :: v_dual_cndmask_b32 v12, v12, v37, s13
	v_cndmask_b32_e64 v16, v16, v68, s3
	s_delay_alu instid0(VALU_DEP_1) | instskip(NEXT) | instid1(VALU_DEP_1)
	v_dual_cndmask_b32 v13, v13, v140, s4 :: v_dual_cndmask_b32 v16, v16, v139, s4
	v_dual_cndmask_b32 v13, v13, v49, s5 :: v_dual_cndmask_b32 v16, v16, v48, s5
	s_delay_alu instid0(VALU_DEP_1) | instskip(SKIP_2) | instid1(VALU_DEP_3)
	v_dual_cndmask_b32 v17, v13, v59, s6 :: v_dual_cndmask_b32 v16, v16, v46, s6
	v_cndmask_b32_e64 v50, v50, v14, s24
	v_cndmask_b32_e32 v54, v54, v14, vcc_lo
	v_dual_cndmask_b32 v13, v10, v57, s13 :: v_dual_cndmask_b32 v17, v17, v57, s7
	s_delay_alu instid0(VALU_DEP_4) | instskip(SKIP_1) | instid1(VALU_DEP_3)
	v_dual_cndmask_b32 v16, v16, v37, s7 :: v_dual_cndmask_b32 v32, v47, v15, vcc_lo
	v_dual_cndmask_b32 v142, v11, v15, s14 :: v_dual_cndmask_b32 v133, v133, v15, s23
	v_add_f64_e64 v[18:19], -v[12:13], 0
	s_delay_alu instid0(VALU_DEP_3)
	v_dual_add_f64 v[20:21], v[16:17], -v[12:13] :: v_dual_cndmask_b32 v141, v2, v14, s20
	v_dual_cndmask_b32 v143, v3, v15, s20 :: v_dual_cndmask_b32 v3, v74, v73, s18
	v_cndmask_b32_e64 v52, v52, v14, s25
	v_dual_cndmask_b32 v56, v56, v14, s14 :: v_dual_cndmask_b32 v61, v61, v15, s24
	v_cndmask_b32_e64 v63, v63, v15, s25
	;; [unrolled: 2-line block ×3, first 2 shown]
	v_dual_cndmask_b32 v118, v118, v14, s21 :: v_dual_cndmask_b32 v120, v120, v14, s22
	v_dual_cndmask_b32 v131, v131, v15, s19 :: v_dual_cndmask_b32 v121, v121, v15, s22
	;; [unrolled: 1-line block ×4, first 2 shown]
	v_cndmask_b32_e64 v3, v3, v72, s17
	s_delay_alu instid0(VALU_DEP_2) | instskip(NEXT) | instid1(VALU_DEP_1)
	v_dual_cndmask_b32 v15, v15, v72, s16 :: v_dual_cndmask_b32 v2, v2, v113, s17
	v_dual_cndmask_b32 v14, v14, v113, s16 :: v_dual_cndmask_b32 v15, v15, v62, s15
	s_delay_alu instid0(VALU_DEP_1) | instskip(SKIP_2) | instid1(VALU_DEP_3)
	v_cndmask_b32_e64 v14, v14, v124, s15
	v_div_scale_f64 v[22:23], null, v[20:21], v[20:21], v[18:19]
	v_div_scale_f64 v[28:29], vcc_lo, v[18:19], v[20:21], v[18:19]
	v_cndmask_b32_e64 v14, v14, v47, s9
	s_delay_alu instid0(VALU_DEP_3) | instskip(SKIP_1) | instid1(TRANS32_DEP_1)
	v_rcp_f64_e32 v[24:25], v[22:23]
	v_nop
	v_fma_f64 v[26:27], -v[22:23], v[24:25], 1.0
	s_delay_alu instid0(VALU_DEP_1) | instskip(NEXT) | instid1(VALU_DEP_1)
	v_fmac_f64_e32 v[24:25], v[24:25], v[26:27]
	v_fma_f64 v[26:27], -v[22:23], v[24:25], 1.0
	s_delay_alu instid0(VALU_DEP_1) | instskip(NEXT) | instid1(VALU_DEP_1)
	v_fmac_f64_e32 v[24:25], v[24:25], v[26:27]
	v_mul_f64_e32 v[26:27], v[28:29], v[24:25]
	s_delay_alu instid0(VALU_DEP_1) | instskip(NEXT) | instid1(VALU_DEP_1)
	v_fma_f64 v[22:23], -v[22:23], v[26:27], v[28:29]
	v_div_fmas_f64 v[22:23], v[22:23], v[24:25], v[26:27]
	v_dual_cndmask_b32 v26, v2, v124, s2 :: v_dual_cndmask_b32 v27, v3, v62, s2
	v_dual_cndmask_b32 v24, v121, v119, s8 :: v_dual_cndmask_b32 v25, v120, v118, s8
	s_delay_alu instid0(VALU_DEP_1) | instskip(NEXT) | instid1(VALU_DEP_1)
	v_dual_cndmask_b32 v24, v24, v143, s16 :: v_dual_cndmask_b32 v25, v25, v141, s16
	v_cndmask_b32_e64 v25, v25, v130, s15
	v_div_fixup_f64 v[10:11], v[22:23], v[20:21], v[18:19]
	v_dual_cndmask_b32 v18, v71, v138, s18 :: v_dual_cndmask_b32 v19, v70, v112, s18
	v_dual_cndmask_b32 v20, v71, v138, s8 :: v_dual_cndmask_b32 v21, v70, v112, s8
	;; [unrolled: 1-line block ×3, first 2 shown]
	s_delay_alu instid0(VALU_DEP_2) | instskip(NEXT) | instid1(VALU_DEP_3)
	v_dual_cndmask_b32 v18, v18, v137, s17 :: v_dual_cndmask_b32 v20, v20, v137, s16
	v_dual_cndmask_b32 v19, v19, v81, s17 :: v_dual_cndmask_b32 v21, v21, v81, s16
	s_delay_alu instid0(VALU_DEP_3) | instskip(NEXT) | instid1(VALU_DEP_3)
	v_dual_cndmask_b32 v22, v22, v143, s17 :: v_dual_cndmask_b32 v23, v23, v141, s17
	v_dual_cndmask_b32 v20, v20, v136, s15 :: v_dual_cndmask_b32 v28, v18, v136, s2
	s_delay_alu instid0(VALU_DEP_3) | instskip(NEXT) | instid1(VALU_DEP_2)
	v_cndmask_b32_e64 v21, v21, v80, s15
	v_dual_cndmask_b32 v15, v15, v60, s9 :: v_dual_cndmask_b32 v18, v20, v135, s9
	v_cndmask_b32_e64 v14, v14, v55, s10
	s_delay_alu instid0(VALU_DEP_3) | instskip(NEXT) | instid1(VALU_DEP_3)
	v_dual_cndmask_b32 v20, v21, v79, s9 :: v_dual_cndmask_b32 v21, v19, v80, s2
	v_dual_cndmask_b32 v15, v15, v58, s10 :: v_dual_cndmask_b32 v18, v18, v128, s10
	s_delay_alu instid0(VALU_DEP_2) | instskip(NEXT) | instid1(VALU_DEP_4)
	v_dual_cndmask_b32 v22, v22, v131, s2 :: v_dual_cndmask_b32 v19, v20, v78, s10
	v_dual_cndmask_b32 v14, v14, v53, s11 :: v_dual_cndmask_b32 v20, v24, v131, s15
	s_delay_alu instid0(VALU_DEP_3) | instskip(NEXT) | instid1(VALU_DEP_2)
	v_dual_cndmask_b32 v15, v15, v41, s11 :: v_dual_cndmask_b32 v18, v18, v126, s11
	v_dual_cndmask_b32 v19, v19, v77, s11 :: v_dual_cndmask_b32 v14, v14, v51, s12
	v_add_f64_e64 v[2:3], -v[10:11], 1.0
	s_delay_alu instid0(VALU_DEP_3) | instskip(NEXT) | instid1(VALU_DEP_3)
	v_dual_cndmask_b32 v24, v15, v34, s12 :: v_dual_cndmask_b32 v18, v18, v116, s12
	v_dual_cndmask_b32 v29, v19, v76, s12 :: v_dual_cndmask_b32 v15, v14, v31, s13
	s_delay_alu instid0(VALU_DEP_2) | instskip(NEXT) | instid1(VALU_DEP_2)
	v_cndmask_b32_e64 v14, v24, v30, s13
	v_dual_cndmask_b32 v19, v18, v114, s13 :: v_dual_cndmask_b32 v18, v29, v75, s13
	v_dual_cndmask_b32 v24, v26, v47, s3 :: v_dual_cndmask_b32 v26, v27, v60, s3
	v_cndmask_b32_e64 v27, v28, v135, s3
	s_delay_alu instid0(VALU_DEP_3) | instskip(SKIP_4) | instid1(VALU_DEP_3)
	v_mul_f64_e32 v[44:45], v[18:19], v[2:3]
	v_mul_f64_e32 v[42:43], v[14:15], v[2:3]
	v_dual_cndmask_b32 v14, v21, v79, s3 :: v_dual_cndmask_b32 v15, v20, v133, s9
	v_dual_cndmask_b32 v18, v25, v132, s9 :: v_dual_cndmask_b32 v19, v24, v55, s4
	;; [unrolled: 1-line block ×3, first 2 shown]
	v_cndmask_b32_e64 v14, v14, v78, s4
	s_delay_alu instid0(VALU_DEP_3) | instskip(NEXT) | instid1(VALU_DEP_4)
	v_dual_cndmask_b32 v15, v15, v142, s10 :: v_dual_cndmask_b32 v18, v18, v56, s10
	v_cndmask_b32_e64 v19, v19, v53, s5
	s_delay_alu instid0(VALU_DEP_4) | instskip(NEXT) | instid1(VALU_DEP_3)
	v_dual_cndmask_b32 v20, v20, v41, s5 :: v_dual_cndmask_b32 v21, v21, v126, s5
	v_dual_cndmask_b32 v15, v15, v32, s11 :: v_dual_cndmask_b32 v14, v14, v77, s5
	s_delay_alu instid0(VALU_DEP_3) | instskip(NEXT) | instid1(VALU_DEP_3)
	v_dual_cndmask_b32 v18, v18, v54, s11 :: v_dual_cndmask_b32 v19, v19, v51, s6
	v_dual_cndmask_b32 v20, v20, v34, s6 :: v_dual_cndmask_b32 v21, v21, v116, s6
	s_delay_alu instid0(VALU_DEP_3) | instskip(NEXT) | instid1(VALU_DEP_3)
	v_dual_cndmask_b32 v25, v14, v76, s6 :: v_dual_cndmask_b32 v24, v15, v63, s12
	v_dual_cndmask_b32 v18, v18, v52, s12 :: v_dual_cndmask_b32 v15, v19, v31, s7
	s_delay_alu instid0(VALU_DEP_2) | instskip(NEXT) | instid1(VALU_DEP_3)
	v_dual_cndmask_b32 v14, v20, v30, s7 :: v_dual_cndmask_b32 v20, v25, v75, s7
	v_dual_cndmask_b32 v21, v21, v114, s7 :: v_dual_cndmask_b32 v19, v24, v61, s13
	s_delay_alu instid0(VALU_DEP_3) | instskip(SKIP_1) | instid1(VALU_DEP_3)
	v_cndmask_b32_e64 v18, v18, v50, s13
	v_dual_mul_f64 v[64:65], v[12:13], v[2:3] :: v_dual_cndmask_b32 v12, v22, v133, s3
	v_fmac_f64_e32 v[44:45], v[20:21], v[10:11]
	s_delay_alu instid0(VALU_DEP_3)
	v_mul_f64_e32 v[66:67], v[18:19], v[2:3]
	v_lshl_add_u32 v3, v35, 2, v134
	v_fmac_f64_e32 v[42:43], v[14:15], v[10:11]
	ds_load_b32 v36, v3 offset:40
	s_wait_dscnt 0x0
	v_cmp_eq_u32_e32 vcc_lo, 8, v36
	v_cndmask_b32_e64 v2, v23, v130, s2
	v_cmp_eq_u32_e64 s2, 7, v36
	v_cmp_eq_u32_e64 s8, 1, v36
	;; [unrolled: 1-line block ×3, first 2 shown]
	v_cndmask_b32_e32 v29, v114, v45, vcc_lo
	v_dual_cndmask_b32 v2, v2, v132, s3 :: v_dual_cndmask_b32 v3, v12, v142, s4
	v_fmac_f64_e32 v[64:65], v[16:17], v[10:11]
	v_cndmask_b32_e64 v27, v116, v45, s2
	v_cmp_eq_u32_e64 s3, 6, v36
	s_delay_alu instid0(VALU_DEP_4) | instskip(SKIP_3) | instid1(VALU_DEP_3)
	v_cndmask_b32_e64 v2, v2, v56, s4
	v_cndmask_b32_e64 v3, v3, v32, s5
	v_cmp_eq_u32_e64 s4, 5, v36
	v_dual_cndmask_b32 v31, v31, v43, vcc_lo :: v_dual_cndmask_b32 v26, v76, v44, s2
	v_dual_cndmask_b32 v2, v2, v54, s5 :: v_dual_cndmask_b32 v3, v3, v63, s6
	v_cmp_eq_u32_e64 s5, 4, v36
	v_dual_cndmask_b32 v28, v75, v44, vcc_lo :: v_dual_cndmask_b32 v53, v53, v43, s3
	s_delay_alu instid0(VALU_DEP_3) | instskip(SKIP_2) | instid1(VALU_DEP_3)
	v_dual_cndmask_b32 v2, v2, v52, s6 :: v_dual_cndmask_b32 v3, v3, v61, s7
	v_cmp_eq_u32_e64 s6, 3, v36
	v_dual_cndmask_b32 v51, v51, v43, s2 :: v_dual_cndmask_b32 v25, v126, v45, s3
	v_cndmask_b32_e64 v2, v2, v50, s7
	v_cmp_eq_u32_e64 s7, 2, v36
	v_dual_cndmask_b32 v24, v77, v44, s3 :: v_dual_cndmask_b32 v55, v55, v43, s4
	v_dual_cndmask_b32 v23, v128, v45, s4 :: v_dual_cndmask_b32 v22, v78, v44, s4
	s_delay_alu instid0(VALU_DEP_4)
	v_fmac_f64_e32 v[66:67], v[2:3], v[10:11]
	v_lshl_add_u32 v2, v36, 2, v134
	v_dual_cndmask_b32 v129, v47, v43, s5 :: v_dual_cndmask_b32 v127, v124, v43, s6
	v_dual_cndmask_b32 v21, v135, v45, s5 :: v_dual_cndmask_b32 v19, v136, v45, s6
	ds_load_b32 v2, v2 offset:40
	v_dual_cndmask_b32 v20, v79, v44, s5 :: v_dual_cndmask_b32 v18, v80, v44, s6
	v_dual_cndmask_b32 v113, v113, v43, s7 :: v_dual_cndmask_b32 v115, v115, v43, s8
	;; [unrolled: 1-line block ×10, first 2 shown]
	s_wait_dscnt 0x0
	scratch_store_b32 off, v2, off offset:4
	v_dual_cndmask_b32 v107, v107, v65, s7 :: v_dual_cndmask_b32 v106, v106, v64, s7
	v_dual_cndmask_b32 v109, v109, v65, s8 :: v_dual_cndmask_b32 v108, v108, v64, s8
	;; [unrolled: 1-line block ×5, first 2 shown]
	s_wait_xcnt 0x0
	v_dual_cndmask_b32 v3, v143, v67, s7 :: v_dual_cndmask_b32 v2, v141, v66, s7
	v_dual_cndmask_b32 v119, v119, v67, s8 :: v_dual_cndmask_b32 v118, v118, v66, s8
	;; [unrolled: 1-line block ×3, first 2 shown]
	v_dual_cndmask_b32 v30, v30, v42, vcc_lo :: v_dual_cndmask_b32 v60, v41, v42, s3
	v_dual_cndmask_b32 v62, v34, v42, s2 :: v_dual_cndmask_b32 v57, v57, v65, vcc_lo
	v_dual_cndmask_b32 v58, v58, v42, s4 :: v_dual_cndmask_b32 v44, v37, v64, vcc_lo
	v_dual_cndmask_b32 v59, v59, v65, s2 :: v_dual_cndmask_b32 v46, v46, v64, s2
	v_dual_cndmask_b32 v49, v49, v65, s3 :: v_dual_cndmask_b32 v48, v48, v64, s3
	;; [unrolled: 1-line block ×3, first 2 shown]
	v_dual_cndmask_b32 v61, v61, v67 :: v_dual_cndmask_b32 v50, v50, v66
	v_dual_cndmask_b32 v63, v63, v67, s2 :: v_dual_cndmask_b32 v52, v52, v66, s2
	v_dual_cndmask_b32 v47, v32, v67, s3 :: v_dual_cndmask_b32 v54, v54, v66, s3
	;; [unrolled: 1-line block ×3, first 2 shown]
.LBB4_60:
	s_or_b32 exec_lo, exec_lo, s30
	scratch_store_b32 off, v33, off
	s_wait_xcnt 0x0
	s_and_saveexec_b32 s3, s0
	s_cbranch_execz .LBB4_69
; %bb.61:
	s_mov_b32 s4, 0
	s_branch .LBB4_63
.LBB4_62:                               ;   in Loop: Header=BB4_63 Depth=1
	s_wait_xcnt 0x0
	s_or_b32 exec_lo, exec_lo, s5
	s_wait_dscnt 0x0
	v_cmp_gt_i32_e32 vcc_lo, 0, v32
	v_mov_b32_e32 v38, v32
	s_or_b32 s4, vcc_lo, s4
	s_delay_alu instid0(SALU_CYCLE_1)
	s_and_not1_b32 exec_lo, exec_lo, s4
	s_cbranch_execz .LBB4_69
.LBB4_63:                               ; =>This Inner Loop Header: Depth=1
	s_delay_alu instid0(VALU_DEP_1) | instskip(SKIP_3) | instid1(VALU_DEP_2)
	v_cmp_eq_u32_e32 vcc_lo, 1, v38
	v_cmp_eq_u32_e64 s2, 2, v38
	v_dual_cndmask_b32 v32, v111, v109 :: v_dual_cndmask_b32 v33, v110, v108
	v_cmp_eq_u32_e32 vcc_lo, 3, v38
	v_dual_cndmask_b32 v32, v32, v107, s2 :: v_dual_cndmask_b32 v33, v33, v106, s2
	s_mov_b32 s2, 0
	s_delay_alu instid0(VALU_DEP_1) | instskip(SKIP_1) | instid1(VALU_DEP_2)
	v_dual_cndmask_b32 v32, v32, v123 :: v_dual_cndmask_b32 v33, v33, v122
	v_cmp_eq_u32_e32 vcc_lo, 4, v38
	v_dual_cndmask_b32 v32, v32, v125 :: v_dual_cndmask_b32 v33, v33, v124
	v_cmp_eq_u32_e32 vcc_lo, 5, v38
	s_delay_alu instid0(VALU_DEP_2) | instskip(SKIP_1) | instid1(VALU_DEP_2)
	v_dual_cndmask_b32 v32, v32, v45 :: v_dual_cndmask_b32 v33, v33, v10
	v_cmp_eq_u32_e32 vcc_lo, 6, v38
	v_dual_cndmask_b32 v32, v32, v49 :: v_dual_cndmask_b32 v33, v33, v48
	v_cmp_eq_u32_e32 vcc_lo, 7, v38
	s_delay_alu instid0(VALU_DEP_2) | instskip(SKIP_1) | instid1(VALU_DEP_2)
	v_dual_cndmask_b32 v32, v32, v59, vcc_lo :: v_dual_cndmask_b32 v34, v33, v46, vcc_lo
	v_cmp_eq_u32_e32 vcc_lo, 8, v38
	v_dual_cndmask_b32 v33, v32, v57 :: v_dual_cndmask_b32 v32, v34, v44
	s_delay_alu instid0(VALU_DEP_1) | instskip(SKIP_3) | instid1(SALU_CYCLE_1)
	v_cmp_ngt_f64_e32 vcc_lo, 0, v[32:33]
	v_lshl_add_u32 v33, v38, 2, v134
	ds_load_b32 v32, v33 offset:40
	s_and_saveexec_b32 s5, vcc_lo
	s_xor_b32 s5, exec_lo, s5
	s_cbranch_execnz .LBB4_66
; %bb.64:                               ;   in Loop: Header=BB4_63 Depth=1
	s_or_saveexec_b32 s5, s5
	v_mov_b32_e32 v34, 0
	s_xor_b32 exec_lo, exec_lo, s5
	s_cbranch_execnz .LBB4_67
.LBB4_65:                               ;   in Loop: Header=BB4_63 Depth=1
	s_or_b32 exec_lo, exec_lo, s5
	s_and_saveexec_b32 s5, s2
	s_cbranch_execz .LBB4_62
	s_branch .LBB4_68
.LBB4_66:                               ;   in Loop: Header=BB4_63 Depth=1
	scratch_load_b32 v33, off, off
	s_wait_loadcnt 0x0
	v_cmp_eq_u32_e32 vcc_lo, -1, v33
                                        ; implicit-def: $vgpr33
	s_and_b32 s2, vcc_lo, exec_lo
	s_wait_xcnt 0x0
	s_or_saveexec_b32 s5, s5
	v_mov_b32_e32 v34, 0
	s_xor_b32 exec_lo, exec_lo, s5
	s_cbranch_execz .LBB4_65
.LBB4_67:                               ;   in Loop: Header=BB4_63 Depth=1
	scratch_load_b32 v37, off, off offset:4
	v_mov_b32_e32 v34, 4
	s_or_b32 s2, s2, exec_lo
	s_wait_loadcnt 0x0
	ds_store_b32 v33, v37 offset:40
	s_wait_xcnt 0x0
	s_or_b32 exec_lo, exec_lo, s5
	s_and_saveexec_b32 s5, s2
	s_cbranch_execz .LBB4_62
.LBB4_68:                               ;   in Loop: Header=BB4_63 Depth=1
	scratch_store_b32 v34, v38, off
	s_branch .LBB4_62
.LBB4_69:
	s_or_b32 exec_lo, exec_lo, s3
	s_and_saveexec_b32 s2, s1
	s_cbranch_execz .LBB4_71
; %bb.70:
	v_cmp_gt_f64_e32 vcc_lo, 0, v[0:1]
	v_lshl_add_u32 v0, v39, 2, v134
	v_lshl_add_u32 v1, v35, 2, v134
	v_lshl_add_u32 v33, v36, 2, v134
	s_and_b32 s0, s0, vcc_lo
	s_delay_alu instid0(SALU_CYCLE_1) | instskip(NEXT) | instid1(SALU_CYCLE_1)
	s_or_b32 s0, s27, s0
	v_cndmask_b32_e64 v32, v40, -1, s0
	ds_store_b32 v0, v35 offset:40
	ds_store_b32 v1, v36 offset:40
	;; [unrolled: 1-line block ×3, first 2 shown]
.LBB4_71:
	s_or_b32 exec_lo, exec_lo, s2
	ds_load_2addr_b64 v[32:35], v134 offset0:5 offset1:6
	ds_load_2addr_b64 v[36:39], v134 offset0:7 offset1:8
	s_mov_b32 s27, 0
	s_wait_dscnt 0x1
	ds_store_b128 v134, v[32:35]
	s_wait_dscnt 0x1
	ds_store_b128 v134, v[36:39] offset:16
	s_clause 0x1
	scratch_load_b32 v135, off, off
	scratch_load_b32 v136, off, off offset:4
	ds_load_b32 v0, v134 offset:72
	v_mov_b64_e32 v[34:35], -1
	v_dual_mov_b32 v38, -1 :: v_dual_mov_b32 v39, -1
	s_wait_dscnt 0x0
	ds_store_b32 v134, v0 offset:32
	s_wait_loadcnt 0x1
	v_cmp_eq_u32_e32 vcc_lo, 1, v135
	v_cmp_eq_u32_e64 s0, 2, v135
	scratch_store_b32 off, v135, off offset:8
	s_wait_loadcnt 0x0
	scratch_store_b32 off, v136, off offset:12
	v_dual_cndmask_b32 v0, v121, v119 :: v_dual_cndmask_b32 v1, v120, v118
	v_cmp_eq_u32_e32 vcc_lo, 3, v135
	s_delay_alu instid0(VALU_DEP_2) | instskip(SKIP_1) | instid1(VALU_DEP_2)
	v_dual_cndmask_b32 v0, v0, v3, s0 :: v_dual_cndmask_b32 v1, v1, v2, s0
	v_cmp_lt_i32_e64 s0, -1, v135
	v_dual_cndmask_b32 v0, v0, v131 :: v_dual_cndmask_b32 v1, v1, v130
	v_cmp_eq_u32_e32 vcc_lo, 4, v135
	s_delay_alu instid0(VALU_DEP_2) | instskip(SKIP_1) | instid1(VALU_DEP_2)
	v_dual_cndmask_b32 v0, v0, v133 :: v_dual_cndmask_b32 v1, v1, v132
	v_cmp_eq_u32_e32 vcc_lo, 5, v135
	v_dual_cndmask_b32 v0, v0, v11 :: v_dual_cndmask_b32 v1, v1, v56
	v_cmp_eq_u32_e32 vcc_lo, 6, v135
	s_delay_alu instid0(VALU_DEP_2) | instskip(SKIP_1) | instid1(VALU_DEP_2)
	v_dual_cndmask_b32 v0, v0, v47 :: v_dual_cndmask_b32 v1, v1, v54
	v_cmp_eq_u32_e32 vcc_lo, 7, v135
	v_dual_cndmask_b32 v0, v0, v63, vcc_lo :: v_dual_cndmask_b32 v32, v1, v52, vcc_lo
	v_cmp_eq_u32_e32 vcc_lo, 8, v135
	s_delay_alu instid0(VALU_DEP_2) | instskip(NEXT) | instid1(VALU_DEP_3)
	v_cndmask_b32_e32 v1, v0, v61, vcc_lo
	v_cndmask_b32_e32 v0, v32, v50, vcc_lo
	v_mov_b64_e32 v[32:33], -1
	s_wait_xcnt 0x0
	s_and_saveexec_b32 s5, s0
	s_cbranch_execz .LBB4_75
; %bb.72:
	v_mov_b64_e32 v[36:37], v[0:1]
	v_dual_mov_b32 v38, -1 :: v_dual_mov_b32 v33, v135
	v_dual_mov_b32 v32, -1 :: v_dual_mov_b32 v34, -1
	v_mov_b32_e32 v39, -1
	s_mov_b32 s6, 0
                                        ; implicit-def: $sgpr7
.LBB4_73:                               ; =>This Inner Loop Header: Depth=1
	s_delay_alu instid0(VALU_DEP_3)
	v_lshl_add_u32 v35, v33, 2, v134
	v_cmp_le_f64_e32 vcc_lo, 0, v[36:37]
	v_cmp_gt_f64_e64 s1, 0, v[36:37]
	ds_load_b32 v35, v35 offset:40
	s_wait_dscnt 0x0
	v_cmp_gt_i32_e64 s2, 0, v35
	s_delay_alu instid0(VALU_DEP_1) | instskip(NEXT) | instid1(VALU_DEP_1)
	v_cndmask_b32_e64 v40, v35, v135, s2
	v_cmp_eq_u32_e64 s3, 1, v40
	s_delay_alu instid0(VALU_DEP_1) | instskip(SKIP_2) | instid1(VALU_DEP_2)
	v_dual_cndmask_b32 v37, v120, v118, s3 :: v_dual_cndmask_b32 v36, v121, v119, s3
	v_cmp_eq_u32_e64 s4, 2, v40
	v_cmp_eq_u32_e64 s3, 3, v40
	v_dual_cndmask_b32 v36, v36, v3, s4 :: v_dual_cndmask_b32 v37, v37, v2, s4
	s_delay_alu instid0(VALU_DEP_1) | instskip(SKIP_1) | instid1(VALU_DEP_1)
	v_dual_cndmask_b32 v36, v36, v131, s3 :: v_dual_cndmask_b32 v37, v37, v130, s3
	v_cmp_eq_u32_e64 s3, 4, v40
	v_dual_cndmask_b32 v36, v36, v133, s3 :: v_dual_cndmask_b32 v37, v37, v132, s3
	v_cmp_eq_u32_e64 s3, 5, v40
	s_delay_alu instid0(VALU_DEP_1) | instskip(SKIP_1) | instid1(VALU_DEP_1)
	v_dual_cndmask_b32 v36, v36, v11, s3 :: v_dual_cndmask_b32 v37, v37, v56, s3
	v_cmp_eq_u32_e64 s3, 6, v40
	v_dual_cndmask_b32 v36, v36, v47, s3 :: v_dual_cndmask_b32 v37, v37, v54, s3
	v_cmp_eq_u32_e64 s3, 7, v40
	s_delay_alu instid0(VALU_DEP_1) | instskip(SKIP_1) | instid1(VALU_DEP_1)
	v_dual_cndmask_b32 v36, v36, v63, s3 :: v_dual_cndmask_b32 v41, v37, v52, s3
	v_cmp_eq_u32_e64 s3, 8, v40
	v_dual_cndmask_b32 v37, v36, v61, s3 :: v_dual_cndmask_b32 v36, v41, v50, s3
	s_delay_alu instid0(VALU_DEP_1) | instskip(SKIP_3) | instid1(SALU_CYCLE_1)
	v_cmp_gt_f64_e64 s3, 0, v[36:37]
	v_cmp_le_f64_e64 s4, 0, v[36:37]
	s_and_b32 vcc_lo, vcc_lo, s3
	s_and_b32 s3, s1, s4
	v_dual_cndmask_b32 v34, v34, v40, vcc_lo :: v_dual_cndmask_b32 v39, v39, v40, s3
	v_dual_cndmask_b32 v38, v38, v33, vcc_lo :: v_dual_cndmask_b32 v32, v32, v33, s3
	v_mov_b32_e32 v33, v35
	s_or_b32 s6, s2, s6
	s_and_not1_b32 s2, s7, exec_lo
	s_and_b32 s1, s1, exec_lo
	s_delay_alu instid0(SALU_CYCLE_1)
	s_or_b32 s7, s2, s1
	s_and_not1_b32 exec_lo, exec_lo, s6
	s_cbranch_execnz .LBB4_73
; %bb.74:
	s_or_b32 exec_lo, exec_lo, s6
	s_delay_alu instid0(SALU_CYCLE_1)
	s_and_b32 s27, s7, exec_lo
.LBB4_75:
	s_or_b32 exec_lo, exec_lo, s5
	v_dual_mov_b32 v33, -1 :: v_dual_mov_b32 v36, -1
	v_cmp_lt_i32_e64 s1, -1, v38
	v_lshl_add_u32 v137, v136, 2, v134
	v_mov_b32_e32 v35, -1
	s_and_saveexec_b32 s30, s1
	s_cbranch_execz .LBB4_77
; %bb.76:
	v_cmp_eq_u32_e64 s2, 1, v34
	v_cmp_eq_u32_e64 s11, 1, v38
	v_cmp_eq_u32_e64 s3, 2, v34
	v_cmp_eq_u32_e64 s4, 3, v34
	v_cmp_eq_u32_e64 s5, 4, v34
	v_cndmask_b32_e64 v35, v121, v119, s2
	v_cmp_eq_u32_e64 s6, 5, v34
	v_cmp_eq_u32_e64 s7, 6, v34
	;; [unrolled: 1-line block ×4, first 2 shown]
	v_dual_cndmask_b32 v34, v120, v118, s2 :: v_dual_cndmask_b32 v36, v121, v119, s11
	v_cndmask_b32_e64 v37, v120, v118, s11
	v_cmp_eq_u32_e64 s12, 2, v38
	s_delay_alu instid0(VALU_DEP_3) | instskip(SKIP_2) | instid1(VALU_DEP_4)
	v_dual_cndmask_b32 v35, v35, v3, s3 :: v_dual_cndmask_b32 v34, v34, v2, s3
	v_cmp_eq_u32_e64 s13, 3, v38
	v_cmp_eq_u32_e64 s14, 4, v38
	v_dual_cndmask_b32 v36, v36, v3, s12 :: v_dual_cndmask_b32 v37, v37, v2, s12
	s_delay_alu instid0(VALU_DEP_4) | instskip(SKIP_1) | instid1(VALU_DEP_3)
	v_dual_cndmask_b32 v35, v35, v131, s4 :: v_dual_cndmask_b32 v34, v34, v130, s4
	v_cmp_eq_u32_e64 s15, 5, v38
	v_dual_cndmask_b32 v36, v36, v131, s13 :: v_dual_cndmask_b32 v37, v37, v130, s13
	s_delay_alu instid0(VALU_DEP_3) | instskip(SKIP_1) | instid1(VALU_DEP_3)
	v_dual_cndmask_b32 v35, v35, v133, s5 :: v_dual_cndmask_b32 v34, v34, v132, s5
	v_cmp_eq_u32_e64 s16, 6, v38
	v_dual_cndmask_b32 v36, v36, v133, s14 :: v_dual_cndmask_b32 v37, v37, v132, s14
	s_delay_alu instid0(VALU_DEP_3) | instskip(SKIP_1) | instid1(VALU_DEP_3)
	;; [unrolled: 4-line block ×5, first 2 shown]
	v_dual_cndmask_b32 v35, v35, v61, s10 :: v_dual_cndmask_b32 v34, v34, v50, s10
	v_cmp_eq_u32_e64 s8, 5, v136
	v_cndmask_b32_e64 v37, v36, v61, s18
	s_delay_alu instid0(VALU_DEP_4)
	v_cndmask_b32_e64 v36, v40, v50, s18
	v_cmp_eq_u32_e64 s23, 4, v136
	v_add_f64_e64 v[40:41], -v[34:35], 0
	v_cmp_eq_u32_e64 s19, 3, v136
	v_cmp_eq_u32_e64 s21, 1, v136
	v_add_f64_e64 v[42:43], v[36:37], -v[34:35]
	v_cmp_eq_u32_e64 s22, 0, v136
	v_cmp_eq_u32_e64 s25, 7, v136
	;; [unrolled: 1-line block ×3, first 2 shown]
	s_delay_alu instid0(VALU_DEP_4) | instskip(NEXT) | instid1(VALU_DEP_1)
	v_div_scale_f64 v[64:65], null, v[42:43], v[42:43], v[40:41]
	v_rcp_f64_e32 v[66:67], v[64:65]
	v_nop
	s_delay_alu instid0(TRANS32_DEP_1) | instskip(NEXT) | instid1(VALU_DEP_1)
	v_fma_f64 v[68:69], -v[64:65], v[66:67], 1.0
	v_fmac_f64_e32 v[66:67], v[66:67], v[68:69]
	s_delay_alu instid0(VALU_DEP_1) | instskip(NEXT) | instid1(VALU_DEP_1)
	v_fma_f64 v[68:69], -v[64:65], v[66:67], 1.0
	v_fmac_f64_e32 v[66:67], v[66:67], v[68:69]
	v_div_scale_f64 v[68:69], vcc_lo, v[40:41], v[42:43], v[40:41]
	s_delay_alu instid0(VALU_DEP_1) | instskip(NEXT) | instid1(VALU_DEP_1)
	v_mul_f64_e32 v[70:71], v[68:69], v[66:67]
	v_fma_f64 v[64:65], -v[64:65], v[70:71], v[68:69]
	v_cndmask_b32_e64 v69, v12, v14, s11
	s_delay_alu instid0(VALU_DEP_2) | instskip(SKIP_1) | instid1(VALU_DEP_2)
	v_div_fmas_f64 v[64:65], v[64:65], v[66:67], v[70:71]
	v_cmp_eq_u32_e32 vcc_lo, 6, v136
	v_div_fixup_f64 v[40:41], v[64:65], v[42:43], v[40:41]
	v_dual_cndmask_b32 v42, v117, v115, s11 :: v_dual_cndmask_b32 v65, v116, v114, s2
	s_delay_alu instid0(VALU_DEP_1) | instskip(NEXT) | instid1(VALU_DEP_1)
	v_dual_cndmask_b32 v42, v42, v113, s12 :: v_dual_cndmask_b32 v43, v116, v114, s11
	v_dual_cndmask_b32 v65, v65, v112, s3 :: v_dual_cndmask_b32 v42, v42, v127, s13
	s_delay_alu instid0(VALU_DEP_1) | instskip(NEXT) | instid1(VALU_DEP_1)
	v_dual_cndmask_b32 v43, v43, v112, s12 :: v_dual_cndmask_b32 v65, v65, v126, s4
	;; [unrolled: 3-line block ×6, first 2 shown]
	v_cndmask_b32_e64 v64, v64, v113, s3
	s_delay_alu instid0(VALU_DEP_1) | instskip(NEXT) | instid1(VALU_DEP_1)
	v_cndmask_b32_e64 v64, v64, v127, s4
	v_cndmask_b32_e64 v64, v64, v129, s5
	s_delay_alu instid0(VALU_DEP_1) | instskip(NEXT) | instid1(VALU_DEP_1)
	v_cndmask_b32_e64 v64, v64, v55, s6
	;; [unrolled: 3-line block ×3, first 2 shown]
	v_dual_cndmask_b32 v65, v64, v31, s10 :: v_dual_cndmask_b32 v64, v66, v30, s10
	v_add_f64_e64 v[66:67], -v[40:41], 1.0
	s_delay_alu instid0(VALU_DEP_1) | instskip(NEXT) | instid1(VALU_DEP_1)
	v_mul_f64_e32 v[64:65], v[64:65], v[66:67]
	v_fmac_f64_e32 v[64:65], v[42:43], v[40:41]
	v_cndmask_b32_e64 v42, v13, v15, s2
	s_delay_alu instid0(VALU_DEP_1) | instskip(NEXT) | instid1(VALU_DEP_1)
	v_dual_cndmask_b32 v42, v42, v17, s3 :: v_dual_cndmask_b32 v43, v12, v14, s2
	v_dual_cndmask_b32 v42, v42, v19, s4 :: v_dual_cndmask_b32 v43, v43, v16, s3
	s_delay_alu instid0(VALU_DEP_1) | instskip(NEXT) | instid1(VALU_DEP_1)
	v_dual_cndmask_b32 v42, v42, v21, s5 :: v_dual_cndmask_b32 v43, v43, v18, s4
	v_dual_cndmask_b32 v42, v42, v23, s6 :: v_dual_cndmask_b32 v43, v43, v20, s5
	s_delay_alu instid0(VALU_DEP_1) | instskip(NEXT) | instid1(VALU_DEP_1)
	v_dual_cndmask_b32 v42, v42, v25, s7 :: v_dual_cndmask_b32 v43, v43, v22, s6
	v_cndmask_b32_e64 v42, v42, v27, s9
	v_cndmask_b32_e64 v58, v58, v64, s8
	s_delay_alu instid0(VALU_DEP_3)
	v_cndmask_b32_e64 v43, v43, v24, s7
	v_dual_cndmask_b32 v55, v55, v65, s8 :: v_dual_cndmask_b32 v71, v114, v64, s21
	v_dual_cndmask_b32 v72, v116, v64, s22 :: v_dual_cndmask_b32 v62, v62, v64, s25
	v_dual_cndmask_b32 v60, v60, v64, vcc_lo :: v_dual_cndmask_b32 v31, v31, v65, s24
	v_dual_cndmask_b32 v53, v53, v65, vcc_lo :: v_dual_cndmask_b32 v127, v127, v65, s19
	v_dual_cndmask_b32 v117, v117, v65, s22 :: v_dual_cndmask_b32 v30, v30, v64, s24
	v_dual_cndmask_b32 v68, v43, v26, s9 :: v_dual_cndmask_b32 v43, v42, v29, s10
	s_delay_alu instid0(VALU_DEP_1) | instskip(SKIP_1) | instid1(VALU_DEP_1)
	v_dual_cndmask_b32 v113, v113, v65, s20 :: v_dual_cndmask_b32 v42, v68, v28, s10
	v_cndmask_b32_e64 v68, v13, v15, s11
	v_dual_cndmask_b32 v68, v68, v17, s12 :: v_dual_cndmask_b32 v69, v69, v16, s12
	s_delay_alu instid0(VALU_DEP_3) | instskip(NEXT) | instid1(VALU_DEP_2)
	v_mul_f64_e32 v[42:43], v[42:43], v[66:67]
	v_dual_cndmask_b32 v68, v68, v19, s13 :: v_dual_cndmask_b32 v69, v69, v18, s13
	s_delay_alu instid0(VALU_DEP_1) | instskip(NEXT) | instid1(VALU_DEP_1)
	v_dual_cndmask_b32 v68, v68, v21, s14 :: v_dual_cndmask_b32 v69, v69, v20, s14
	v_dual_cndmask_b32 v68, v68, v23, s15 :: v_dual_cndmask_b32 v69, v69, v22, s15
	s_delay_alu instid0(VALU_DEP_1) | instskip(NEXT) | instid1(VALU_DEP_1)
	v_dual_cndmask_b32 v68, v68, v25, s16 :: v_dual_cndmask_b32 v69, v69, v24, s16
	v_dual_cndmask_b32 v68, v68, v27, s17 :: v_dual_cndmask_b32 v70, v69, v26, s17
	s_delay_alu instid0(VALU_DEP_1) | instskip(SKIP_1) | instid1(VALU_DEP_2)
	v_dual_cndmask_b32 v69, v68, v29, s18 :: v_dual_cndmask_b32 v68, v70, v28, s18
	v_cndmask_b32_e64 v70, v112, v64, s20
	v_fmac_f64_e32 v[42:43], v[68:69], v[40:41]
	v_dual_cndmask_b32 v68, v128, v64, s23 :: v_dual_cndmask_b32 v69, v126, v64, s19
	s_delay_alu instid0(VALU_DEP_2) | instskip(SKIP_3) | instid1(VALU_DEP_2)
	v_dual_cndmask_b32 v79, v12, v42, s22 :: v_dual_cndmask_b32 v29, v29, v43, s24
	v_dual_cndmask_b32 v126, v15, v43, s21 :: v_dual_cndmask_b32 v128, v13, v43, s22
	;; [unrolled: 1-line block ×5, first 2 shown]
	s_delay_alu instid0(VALU_DEP_3) | instskip(SKIP_1) | instid1(VALU_DEP_3)
	v_dual_cndmask_b32 v51, v51, v65, s25 :: v_dual_cndmask_b32 v12, v12, v107, s3
	v_cmp_eq_u32_e64 s2, 3, v39
	v_cndmask_b32_e64 v15, v15, v106, s12
	s_delay_alu instid0(VALU_DEP_4) | instskip(SKIP_3) | instid1(VALU_DEP_4)
	v_cndmask_b32_e64 v13, v13, v122, s4
	v_cmp_eq_u32_e64 s3, 4, v39
	v_cndmask_b32_e64 v12, v12, v123, s4
	v_cmp_eq_u32_e64 s4, 5, v39
	v_dual_cndmask_b32 v15, v15, v122, s13 :: v_dual_cndmask_b32 v13, v13, v124, s5
	v_dual_cndmask_b32 v114, v19, v43, s19 :: v_dual_cndmask_b32 v116, v17, v43, s20
	s_delay_alu instid0(VALU_DEP_2) | instskip(NEXT) | instid1(VALU_DEP_3)
	v_dual_cndmask_b32 v12, v12, v125, s5 :: v_dual_cndmask_b32 v15, v15, v124, s14
	v_cndmask_b32_e64 v13, v13, v10, s6
	v_cmp_eq_u32_e64 s5, 6, v39
	v_dual_cndmask_b32 v75, v20, v42, s23 :: v_dual_cndmask_b32 v76, v18, v42, s19
	s_delay_alu instid0(VALU_DEP_3) | instskip(SKIP_3) | instid1(VALU_DEP_4)
	v_dual_cndmask_b32 v12, v12, v45, s6 :: v_dual_cndmask_b32 v13, v13, v48, s7
	v_cndmask_b32_e64 v15, v15, v10, s15
	v_cmp_eq_u32_e64 s6, 7, v39
	v_dual_cndmask_b32 v81, v23, v43, s8 :: v_dual_cndmask_b32 v112, v21, v43, s23
	v_dual_cndmask_b32 v12, v12, v49, s7 :: v_dual_cndmask_b32 v14, v13, v46, s9
	s_delay_alu instid0(VALU_DEP_4) | instskip(SKIP_2) | instid1(VALU_DEP_3)
	v_cndmask_b32_e64 v15, v15, v48, s16
	v_cmp_eq_u32_e64 s7, 8, v39
	v_dual_cndmask_b32 v73, v24, v42, vcc_lo :: v_dual_cndmask_b32 v74, v22, v42, s8
	v_dual_cndmask_b32 v12, v12, v59, s9 :: v_dual_cndmask_b32 v16, v15, v46, s17
	v_cmp_eq_u32_e64 s9, 1, v32
	v_dual_cndmask_b32 v27, v27, v43, s25 :: v_dual_cndmask_b32 v80, v25, v43, vcc_lo
	s_delay_alu instid0(VALU_DEP_3) | instskip(SKIP_4) | instid1(VALU_DEP_4)
	v_dual_cndmask_b32 v13, v12, v57, s10 :: v_dual_cndmask_b32 v12, v14, v44, s10
	v_cndmask_b32_e64 v14, v111, v109, s11
	v_cmp_eq_u32_e64 s10, 4, v32
	v_cmp_eq_u32_e64 s11, 5, v32
	v_dual_cndmask_b32 v28, v28, v42, s24 :: v_dual_cndmask_b32 v26, v26, v42, s25
	v_cndmask_b32_e64 v14, v14, v107, s12
	v_cmp_eq_u32_e64 s12, 6, v32
	s_delay_alu instid0(VALU_DEP_2) | instskip(SKIP_1) | instid1(VALU_DEP_2)
	v_cndmask_b32_e64 v14, v14, v123, s13
	v_cmp_eq_u32_e64 s13, 7, v32
	v_cndmask_b32_e64 v14, v14, v125, s14
	v_cmp_eq_u32_e64 s14, 8, v32
	s_delay_alu instid0(VALU_DEP_2) | instskip(SKIP_1) | instid1(VALU_DEP_2)
	v_cndmask_b32_e64 v14, v14, v45, s15
	v_cmp_eq_u32_e64 s15, 3, v32
	v_cndmask_b32_e64 v14, v14, v49, s16
	v_cmp_eq_u32_e64 s16, 2, v32
	v_mul_f64_e32 v[12:13], v[12:13], v[66:67]
	s_delay_alu instid0(VALU_DEP_3) | instskip(SKIP_1) | instid1(VALU_DEP_2)
	v_cndmask_b32_e64 v14, v14, v59, s17
	v_cmp_eq_u32_e64 s17, 2, v39
	v_dual_cndmask_b32 v15, v14, v57, s18 :: v_dual_cndmask_b32 v14, v16, v44, s18
	v_cmp_eq_u32_e64 s18, 1, v39
	s_delay_alu instid0(VALU_DEP_2) | instskip(SKIP_1) | instid1(VALU_DEP_2)
	v_fmac_f64_e32 v[12:13], v[14:15], v[40:41]
	v_mul_f64_e32 v[14:15], v[34:35], v[66:67]
	v_dual_cndmask_b32 v115, v115, v65, s21 :: v_dual_cndmask_b32 v124, v124, v12, s23
	s_delay_alu instid0(VALU_DEP_3) | instskip(NEXT) | instid1(VALU_DEP_3)
	v_cndmask_b32_e32 v32, v49, v13, vcc_lo
	v_fmac_f64_e32 v[14:15], v[36:37], v[40:41]
	v_dual_cndmask_b32 v48, v48, v12, vcc_lo :: v_dual_cndmask_b32 v138, v10, v12, s8
	v_dual_cndmask_b32 v49, v129, v65, s23 :: v_dual_cndmask_b32 v44, v44, v12, s24
	v_dual_cndmask_b32 v46, v46, v12, s25 :: v_dual_cndmask_b32 v57, v57, v13, s24
	;; [unrolled: 1-line block ×8, first 2 shown]
	v_cndmask_b32_e64 v13, v72, v71, s18
	s_delay_alu instid0(VALU_DEP_1) | instskip(NEXT) | instid1(VALU_DEP_1)
	v_dual_cndmask_b32 v12, v12, v113, s17 :: v_dual_cndmask_b32 v13, v13, v70, s17
	v_dual_cndmask_b32 v35, v12, v127, s2 :: v_dual_cndmask_b32 v36, v13, v69, s2
	;; [unrolled: 1-line block ×5, first 2 shown]
	s_delay_alu instid0(VALU_DEP_3) | instskip(NEXT) | instid1(VALU_DEP_3)
	v_dual_cndmask_b32 v140, v3, v15, s20 :: v_dual_cndmask_b32 v3, v120, v118, s9
	v_dual_cndmask_b32 v2, v121, v119, s9 :: v_dual_cndmask_b32 v10, v121, v119, s18
	;; [unrolled: 1-line block ×4, first 2 shown]
	s_delay_alu instid0(VALU_DEP_3)
	v_dual_cndmask_b32 v3, v3, v139, s16 :: v_dual_cndmask_b32 v10, v10, v140, s17
	v_dual_cndmask_b32 v34, v50, v14, s24 :: v_dual_cndmask_b32 v52, v52, v14, s25
	;; [unrolled: 1-line block ×3, first 2 shown]
	v_dual_cndmask_b32 v47, v47, v15, vcc_lo :: v_dual_cndmask_b32 v61, v132, v14, s23
	v_cndmask_b32_e64 v2, v2, v140, s16
	v_cndmask_b32_e64 v10, v10, v131, s2
	v_dual_cndmask_b32 v3, v3, v67, s15 :: v_dual_cndmask_b32 v54, v54, v14, vcc_lo
	v_cndmask_b32_e64 v56, v56, v14, s8
	s_delay_alu instid0(VALU_DEP_3) | instskip(NEXT) | instid1(VALU_DEP_3)
	v_cndmask_b32_e64 v10, v10, v130, s3
	v_dual_cndmask_b32 v2, v2, v131, s15 :: v_dual_cndmask_b32 v3, v3, v61, s10
	s_delay_alu instid0(VALU_DEP_2) | instskip(NEXT) | instid1(VALU_DEP_2)
	v_dual_cndmask_b32 v11, v11, v139, s17 :: v_dual_cndmask_b32 v10, v10, v66, s4
	v_dual_cndmask_b32 v2, v2, v130, s10 :: v_dual_cndmask_b32 v3, v3, v56, s11
	s_delay_alu instid0(VALU_DEP_2) | instskip(NEXT) | instid1(VALU_DEP_3)
	v_cndmask_b32_e64 v11, v11, v67, s2
	v_cndmask_b32_e64 v10, v10, v47, s5
	s_delay_alu instid0(VALU_DEP_3) | instskip(NEXT) | instid1(VALU_DEP_4)
	v_cndmask_b32_e64 v2, v2, v66, s11
	v_cndmask_b32_e64 v3, v3, v54, s12
	s_delay_alu instid0(VALU_DEP_3) | instskip(NEXT) | instid1(VALU_DEP_2)
	v_dual_cndmask_b32 v11, v11, v61, s3 :: v_dual_cndmask_b32 v10, v10, v63, s6
	v_dual_cndmask_b32 v2, v2, v47, s12 :: v_dual_cndmask_b32 v14, v3, v52, s13
	s_delay_alu instid0(VALU_DEP_1) | instskip(NEXT) | instid1(VALU_DEP_1)
	v_dual_cndmask_b32 v11, v11, v56, s4 :: v_dual_cndmask_b32 v2, v2, v63, s13
	v_cndmask_b32_e64 v11, v11, v54, s5
	s_delay_alu instid0(VALU_DEP_1) | instskip(NEXT) | instid1(VALU_DEP_4)
	v_dual_cndmask_b32 v3, v2, v50, s14 :: v_dual_cndmask_b32 v15, v11, v52, s6
	v_cndmask_b32_e64 v2, v14, v34, s14
	v_cndmask_b32_e64 v11, v10, v50, s7
	s_delay_alu instid0(VALU_DEP_3) | instskip(NEXT) | instid1(VALU_DEP_3)
	v_cndmask_b32_e64 v10, v15, v34, s7
	v_add_f64_e64 v[14:15], -v[2:3], 0
	s_delay_alu instid0(VALU_DEP_2) | instskip(NEXT) | instid1(VALU_DEP_1)
	v_add_f64_e64 v[16:17], v[10:11], -v[2:3]
	v_div_scale_f64 v[18:19], null, v[16:17], v[16:17], v[14:15]
	v_div_scale_f64 v[24:25], vcc_lo, v[14:15], v[16:17], v[14:15]
	s_delay_alu instid0(VALU_DEP_2) | instskip(SKIP_1) | instid1(TRANS32_DEP_1)
	v_rcp_f64_e32 v[20:21], v[18:19]
	v_nop
	v_fma_f64 v[22:23], -v[18:19], v[20:21], 1.0
	s_delay_alu instid0(VALU_DEP_1) | instskip(NEXT) | instid1(VALU_DEP_1)
	v_fmac_f64_e32 v[20:21], v[20:21], v[22:23]
	v_fma_f64 v[22:23], -v[18:19], v[20:21], 1.0
	s_delay_alu instid0(VALU_DEP_1) | instskip(NEXT) | instid1(VALU_DEP_1)
	v_fmac_f64_e32 v[20:21], v[20:21], v[22:23]
	v_mul_f64_e32 v[22:23], v[24:25], v[20:21]
	s_delay_alu instid0(VALU_DEP_1) | instskip(SKIP_1) | instid1(VALU_DEP_1)
	v_fma_f64 v[18:19], -v[18:19], v[22:23], v[24:25]
	v_dual_cndmask_b32 v24, v111, v109, s9 :: v_dual_cndmask_b32 v25, v110, v108, s9
	v_dual_cndmask_b32 v24, v24, v107, s16 :: v_dual_cndmask_b32 v25, v25, v106, s16
	s_delay_alu instid0(VALU_DEP_3) | instskip(SKIP_2) | instid1(VALU_DEP_2)
	v_div_fmas_f64 v[18:19], v[18:19], v[20:21], v[22:23]
	v_dual_cndmask_b32 v20, v128, v126, s9 :: v_dual_cndmask_b32 v22, v111, v109, s18
	v_dual_cndmask_b32 v21, v79, v78, s9 :: v_dual_cndmask_b32 v23, v110, v108, s18
	;; [unrolled: 1-line block ×3, first 2 shown]
	s_delay_alu instid0(VALU_DEP_2) | instskip(NEXT) | instid1(VALU_DEP_1)
	v_dual_cndmask_b32 v21, v21, v77, s16 :: v_dual_cndmask_b32 v23, v23, v106, s17
	v_dual_cndmask_b32 v20, v20, v114, s15 :: v_dual_cndmask_b32 v21, v21, v76, s15
	v_div_fixup_f64 v[14:15], v[18:19], v[16:17], v[14:15]
	v_dual_cndmask_b32 v16, v117, v115, s9 :: v_dual_cndmask_b32 v18, v128, v126, s18
	v_dual_cndmask_b32 v17, v72, v71, s9 :: v_dual_cndmask_b32 v19, v79, v78, s18
	s_delay_alu instid0(VALU_DEP_2) | instskip(NEXT) | instid1(VALU_DEP_2)
	v_dual_cndmask_b32 v16, v16, v113, s16 :: v_dual_cndmask_b32 v18, v18, v116, s17
	v_dual_cndmask_b32 v17, v17, v70, s16 :: v_dual_cndmask_b32 v19, v19, v77, s17
	s_delay_alu instid0(VALU_DEP_1) | instskip(NEXT) | instid1(VALU_DEP_3)
	v_dual_cndmask_b32 v16, v16, v127, s15 :: v_dual_cndmask_b32 v17, v17, v69, s15
	v_dual_cndmask_b32 v37, v18, v114, s2 :: v_dual_cndmask_b32 v18, v20, v112, s10
	s_delay_alu instid0(VALU_DEP_2) | instskip(NEXT) | instid1(VALU_DEP_2)
	v_dual_cndmask_b32 v20, v21, v75, s10 :: v_dual_cndmask_b32 v16, v16, v49, s10
	v_dual_cndmask_b32 v17, v17, v68, s10 :: v_dual_cndmask_b32 v18, v18, v81, s11
	s_delay_alu instid0(VALU_DEP_2) | instskip(NEXT) | instid1(VALU_DEP_2)
	v_dual_cndmask_b32 v16, v16, v55, s11 :: v_dual_cndmask_b32 v21, v19, v76, s2
	v_cndmask_b32_e64 v17, v17, v58, s11
	s_delay_alu instid0(VALU_DEP_4) | instskip(NEXT) | instid1(VALU_DEP_3)
	v_dual_cndmask_b32 v19, v20, v74, s11 :: v_dual_cndmask_b32 v22, v22, v123, s2
	v_dual_cndmask_b32 v16, v16, v53, s12 :: v_dual_cndmask_b32 v18, v18, v80, s12
	s_delay_alu instid0(VALU_DEP_3) | instskip(NEXT) | instid1(VALU_DEP_3)
	v_dual_cndmask_b32 v20, v24, v123, s15 :: v_dual_cndmask_b32 v17, v17, v60, s12
	v_cndmask_b32_e64 v19, v19, v73, s12
	v_add_f64_e64 v[12:13], -v[14:15], 1.0
	s_delay_alu instid0(VALU_DEP_4) | instskip(NEXT) | instid1(VALU_DEP_4)
	v_cndmask_b32_e64 v16, v16, v51, s13
	v_dual_cndmask_b32 v18, v18, v27, s13 :: v_dual_cndmask_b32 v24, v17, v62, s13
	s_delay_alu instid0(VALU_DEP_4) | instskip(NEXT) | instid1(VALU_DEP_3)
	v_cndmask_b32_e64 v40, v19, v26, s13
	v_dual_cndmask_b32 v25, v25, v122, s15 :: v_dual_cndmask_b32 v17, v16, v31, s14
	s_delay_alu instid0(VALU_DEP_3) | instskip(NEXT) | instid1(VALU_DEP_3)
	v_dual_cndmask_b32 v19, v18, v29, s14 :: v_dual_cndmask_b32 v16, v24, v30, s14
	v_dual_cndmask_b32 v18, v40, v28, s14 :: v_dual_cndmask_b32 v24, v35, v49, s3
	v_cndmask_b32_e64 v35, v36, v68, s3
	v_cndmask_b32_e64 v42, v37, v112, s3
	s_delay_alu instid0(VALU_DEP_3) | instskip(SKIP_2) | instid1(VALU_DEP_4)
	v_dual_mul_f64 v[36:37], v[18:19], v[12:13] :: v_dual_cndmask_b32 v19, v24, v55, s4
	v_mul_f64_e32 v[40:41], v[16:17], v[12:13]
	v_dual_cndmask_b32 v17, v20, v125, s10 :: v_dual_cndmask_b32 v16, v21, v75, s3
	v_dual_cndmask_b32 v18, v25, v124, s10 :: v_dual_cndmask_b32 v21, v42, v81, s4
	s_delay_alu instid0(VALU_DEP_2) | instskip(NEXT) | instid1(VALU_DEP_3)
	v_dual_cndmask_b32 v20, v35, v58, s4 :: v_dual_cndmask_b32 v17, v17, v45, s11
	v_dual_cndmask_b32 v16, v16, v74, s4 :: v_dual_cndmask_b32 v19, v19, v53, s5
	s_delay_alu instid0(VALU_DEP_2) | instskip(NEXT) | instid1(VALU_DEP_2)
	v_dual_cndmask_b32 v18, v18, v138, s11 :: v_dual_cndmask_b32 v20, v20, v60, s5
	v_dual_cndmask_b32 v17, v17, v32, s12 :: v_dual_cndmask_b32 v16, v16, v73, s5
	s_delay_alu instid0(VALU_DEP_2) | instskip(NEXT) | instid1(VALU_DEP_2)
	v_dual_cndmask_b32 v19, v19, v51, s6 :: v_dual_cndmask_b32 v18, v18, v48, s12
	v_dual_mul_f64 v[64:65], v[2:3], v[12:13] :: v_dual_cndmask_b32 v17, v17, v59, s13
	s_delay_alu instid0(VALU_DEP_3) | instskip(NEXT) | instid1(VALU_DEP_3)
	v_dual_cndmask_b32 v21, v21, v80, s5 :: v_dual_cndmask_b32 v24, v16, v26, s6
	v_cndmask_b32_e64 v18, v18, v46, s13
	s_delay_alu instid0(VALU_DEP_3) | instskip(NEXT) | instid1(VALU_DEP_3)
	v_dual_cndmask_b32 v20, v20, v62, s6 :: v_dual_cndmask_b32 v17, v17, v57, s14
	v_dual_cndmask_b32 v21, v21, v27, s6 :: v_dual_cndmask_b32 v2, v23, v122, s2
	s_delay_alu instid0(VALU_DEP_3) | instskip(NEXT) | instid1(VALU_DEP_2)
	v_dual_cndmask_b32 v16, v18, v44, s14 :: v_dual_cndmask_b32 v19, v19, v31, s7
	v_dual_cndmask_b32 v18, v20, v30, s7 :: v_dual_cndmask_b32 v21, v21, v29, s7
	v_cndmask_b32_e64 v20, v24, v28, s7
	ds_load_b32 v35, v137 offset:40
	v_fmac_f64_e32 v[40:41], v[18:19], v[14:15]
	v_fmac_f64_e32 v[36:37], v[20:21], v[14:15]
	s_wait_dscnt 0x0
	v_cmp_eq_u32_e32 vcc_lo, 8, v35
	v_cndmask_b32_e64 v3, v22, v125, s3
	v_cmp_eq_u32_e64 s2, 7, v35
	v_cmp_eq_u32_e64 s8, 1, v35
	;; [unrolled: 1-line block ×3, first 2 shown]
	s_delay_alu instid0(VALU_DEP_3)
	v_dual_cndmask_b32 v31, v31, v41, vcc_lo :: v_dual_cndmask_b32 v26, v26, v36, s2
	v_cndmask_b32_e32 v28, v28, v36, vcc_lo
	v_dual_cndmask_b32 v2, v2, v124, s3 :: v_dual_cndmask_b32 v3, v3, v45, s4
	v_mul_f64_e32 v[42:43], v[16:17], v[12:13]
	v_cmp_eq_u32_e64 s3, 6, v35
	v_dual_cndmask_b32 v29, v29, v37, vcc_lo :: v_dual_cndmask_b32 v27, v27, v37, s2
	s_delay_alu instid0(VALU_DEP_4) | instskip(SKIP_1) | instid1(VALU_DEP_4)
	v_cndmask_b32_e64 v2, v2, v138, s4
	v_cmp_eq_u32_e64 s4, 5, v35
	v_dual_cndmask_b32 v51, v51, v41, s2 :: v_dual_cndmask_b32 v53, v53, v41, s3
	v_dual_cndmask_b32 v25, v80, v37, s3 :: v_dual_cndmask_b32 v24, v73, v36, s3
	s_delay_alu instid0(VALU_DEP_4) | instskip(SKIP_3) | instid1(VALU_DEP_3)
	v_cndmask_b32_e64 v2, v2, v48, s5
	v_cndmask_b32_e64 v3, v3, v32, s5
	v_cmp_eq_u32_e64 s5, 4, v35
	v_dual_cndmask_b32 v55, v55, v41, s4 :: v_dual_cndmask_b32 v22, v74, v36, s4
	v_dual_cndmask_b32 v2, v2, v46, s6 :: v_dual_cndmask_b32 v3, v3, v59, s6
	v_cmp_eq_u32_e64 s6, 3, v35
	s_delay_alu instid0(VALU_DEP_4) | instskip(NEXT) | instid1(VALU_DEP_3)
	v_dual_cndmask_b32 v23, v81, v37, s4 :: v_dual_cndmask_b32 v21, v112, v37, s5
	v_dual_cndmask_b32 v2, v2, v44, s7 :: v_dual_cndmask_b32 v3, v3, v57, s7
	v_cmp_eq_u32_e64 s7, 2, v35
	v_dual_cndmask_b32 v129, v49, v41, s5 :: v_dual_cndmask_b32 v20, v75, v36, s5
	v_dual_cndmask_b32 v127, v127, v41, s6 :: v_dual_cndmask_b32 v18, v76, v36, s6
	s_delay_alu instid0(VALU_DEP_3)
	v_dual_cndmask_b32 v19, v114, v37, s6 :: v_dual_cndmask_b32 v17, v116, v37, s7
	v_dual_cndmask_b32 v113, v113, v41, s7 :: v_dual_cndmask_b32 v115, v115, v41, s8
	v_cndmask_b32_e64 v16, v77, v36, s7
	v_fmac_f64_e32 v[42:43], v[2:3], v[14:15]
	v_lshl_add_u32 v2, v35, 2, v134
	v_dual_cndmask_b32 v13, v128, v37, s9 :: v_dual_cndmask_b32 v12, v79, v36, s9
	v_dual_cndmask_b32 v117, v117, v41, s9 :: v_dual_cndmask_b32 v128, v68, v40, s5
	ds_load_b32 v2, v2 offset:40
	v_dual_cndmask_b32 v112, v70, v40, s7 :: v_dual_cndmask_b32 v114, v71, v40, s8
	v_dual_cndmask_b32 v116, v72, v40, s9 :: v_dual_cndmask_b32 v30, v30, v40, vcc_lo
	v_dual_cndmask_b32 v62, v62, v40, s2 :: v_dual_cndmask_b32 v60, v60, v40, s3
	v_cndmask_b32_e64 v58, v58, v40, s4
	s_wait_dscnt 0x0
	scratch_store_b32 off, v2, off offset:4
	v_cndmask_b32_e64 v125, v125, v43, s5
	v_fmac_f64_e32 v[64:65], v[10:11], v[14:15]
	v_cndmask_b32_e64 v15, v126, v37, s8
	v_cndmask_b32_e64 v14, v78, v36, s8
	v_dual_cndmask_b32 v126, v69, v40, s6 :: v_dual_cndmask_b32 v124, v124, v42, s5
	v_dual_cndmask_b32 v122, v122, v42, s6 :: v_dual_cndmask_b32 v123, v123, v43, s6
	;; [unrolled: 1-line block ×5, first 2 shown]
	v_dual_mov_b32 v36, v136 :: v_dual_cndmask_b32 v57, v57, v43
	v_dual_cndmask_b32 v44, v44, v42, vcc_lo :: v_dual_cndmask_b32 v59, v59, v43, s2
	v_dual_cndmask_b32 v46, v46, v42, s2 :: v_dual_cndmask_b32 v49, v32, v43, s3
	v_dual_cndmask_b32 v48, v48, v42, s3 :: v_dual_cndmask_b32 v45, v45, v43, s4
	;; [unrolled: 1-line block ×6, first 2 shown]
	s_wait_xcnt 0x0
	v_dual_cndmask_b32 v2, v139, v64, s7 :: v_dual_cndmask_b32 v121, v121, v65, s9
	v_dual_cndmask_b32 v119, v119, v65, s8 :: v_dual_cndmask_b32 v120, v120, v64, s9
	v_dual_cndmask_b32 v61, v50, v65, vcc_lo :: v_dual_cndmask_b32 v52, v52, v64, s2
	v_dual_cndmask_b32 v50, v34, v64, vcc_lo :: v_dual_cndmask_b32 v47, v47, v65, s3
	v_dual_cndmask_b32 v54, v54, v64, s3 :: v_dual_cndmask_b32 v56, v56, v64, s4
	v_cndmask_b32_e64 v11, v66, v65, s4
.LBB4_77:
	s_or_b32 exec_lo, exec_lo, s30
	scratch_store_b32 off, v33, off
	s_wait_xcnt 0x0
	s_and_saveexec_b32 s3, s0
	s_cbranch_execz .LBB4_86
; %bb.78:
	v_mov_b32_e32 v32, v135
	s_mov_b32 s4, 0
	s_branch .LBB4_80
.LBB4_79:                               ;   in Loop: Header=BB4_80 Depth=1
	s_wait_xcnt 0x0
	s_or_b32 exec_lo, exec_lo, s5
	s_wait_dscnt 0x0
	v_cmp_gt_i32_e32 vcc_lo, 0, v33
	v_mov_b32_e32 v32, v33
	s_or_b32 s4, vcc_lo, s4
	s_delay_alu instid0(SALU_CYCLE_1)
	s_and_not1_b32 exec_lo, exec_lo, s4
	s_cbranch_execz .LBB4_86
.LBB4_80:                               ; =>This Inner Loop Header: Depth=1
	s_delay_alu instid0(VALU_DEP_1) | instskip(SKIP_4) | instid1(VALU_DEP_2)
	v_cmp_eq_u32_e32 vcc_lo, 1, v32
	v_cmp_eq_u32_e64 s2, 2, v32
	s_mov_b32 s5, exec_lo
	v_dual_cndmask_b32 v33, v121, v119 :: v_dual_cndmask_b32 v34, v120, v118
	v_cmp_eq_u32_e32 vcc_lo, 3, v32
	v_dual_cndmask_b32 v33, v33, v3, s2 :: v_dual_cndmask_b32 v34, v34, v2, s2
	s_mov_b32 s2, 0
	s_delay_alu instid0(VALU_DEP_1) | instskip(SKIP_1) | instid1(VALU_DEP_2)
	v_dual_cndmask_b32 v33, v33, v131 :: v_dual_cndmask_b32 v34, v34, v130
	v_cmp_eq_u32_e32 vcc_lo, 4, v32
	v_dual_cndmask_b32 v33, v33, v133 :: v_dual_cndmask_b32 v34, v34, v132
	v_cmp_eq_u32_e32 vcc_lo, 5, v32
	s_delay_alu instid0(VALU_DEP_2) | instskip(SKIP_1) | instid1(VALU_DEP_2)
	v_dual_cndmask_b32 v33, v33, v11 :: v_dual_cndmask_b32 v34, v34, v56
	v_cmp_eq_u32_e32 vcc_lo, 6, v32
	v_dual_cndmask_b32 v33, v33, v47 :: v_dual_cndmask_b32 v34, v34, v54
	v_cmp_eq_u32_e32 vcc_lo, 7, v32
	s_delay_alu instid0(VALU_DEP_2) | instskip(SKIP_1) | instid1(VALU_DEP_2)
	v_dual_cndmask_b32 v33, v33, v63 :: v_dual_cndmask_b32 v34, v34, v52
	v_cmp_eq_u32_e32 vcc_lo, 8, v32
	v_dual_cndmask_b32 v41, v33, v61 :: v_dual_cndmask_b32 v40, v34, v50
	v_lshl_add_u32 v34, v32, 2, v134
	ds_load_b32 v33, v34 offset:40
	v_cmpx_ngt_f64_e32 0, v[40:41]
	s_xor_b32 s5, exec_lo, s5
	s_cbranch_execnz .LBB4_83
; %bb.81:                               ;   in Loop: Header=BB4_80 Depth=1
	s_or_saveexec_b32 s5, s5
	v_mov_b32_e32 v37, 0
	s_xor_b32 exec_lo, exec_lo, s5
	s_cbranch_execnz .LBB4_84
.LBB4_82:                               ;   in Loop: Header=BB4_80 Depth=1
	s_or_b32 exec_lo, exec_lo, s5
	s_and_saveexec_b32 s5, s2
	s_cbranch_execz .LBB4_79
	s_branch .LBB4_85
.LBB4_83:                               ;   in Loop: Header=BB4_80 Depth=1
	scratch_load_b32 v34, off, off
	s_wait_loadcnt 0x0
	v_cmp_eq_u32_e32 vcc_lo, -1, v34
                                        ; implicit-def: $vgpr34
	s_and_b32 s2, vcc_lo, exec_lo
	s_wait_xcnt 0x0
	s_or_saveexec_b32 s5, s5
	v_mov_b32_e32 v37, 0
	s_xor_b32 exec_lo, exec_lo, s5
	s_cbranch_execz .LBB4_82
.LBB4_84:                               ;   in Loop: Header=BB4_80 Depth=1
	scratch_load_b32 v40, off, off offset:4
	v_mov_b32_e32 v37, 4
	s_or_b32 s2, s2, exec_lo
	s_wait_loadcnt 0x0
	ds_store_b32 v34, v40 offset:40
	s_wait_xcnt 0x0
	s_or_b32 exec_lo, exec_lo, s5
	s_and_saveexec_b32 s5, s2
	s_cbranch_execz .LBB4_79
.LBB4_85:                               ;   in Loop: Header=BB4_80 Depth=1
	scratch_store_b32 v37, v32, off
	s_branch .LBB4_79
.LBB4_86:
	s_or_b32 exec_lo, exec_lo, s3
	s_and_saveexec_b32 s2, s1
	s_cbranch_execz .LBB4_88
; %bb.87:
	v_cmp_gt_f64_e32 vcc_lo, 0, v[0:1]
	v_lshl_add_u32 v0, v38, 2, v134
	v_lshl_add_u32 v1, v36, 2, v134
	;; [unrolled: 1-line block ×3, first 2 shown]
	s_and_b32 s1, s0, vcc_lo
	s_delay_alu instid0(SALU_CYCLE_1) | instskip(NEXT) | instid1(SALU_CYCLE_1)
	s_or_b32 s1, s27, s1
	v_cndmask_b32_e64 v32, v39, -1, s1
	ds_store_b32 v0, v36 offset:40
	ds_store_b32 v1, v35 offset:40
	;; [unrolled: 1-line block ×3, first 2 shown]
.LBB4_88:
	s_or_b32 exec_lo, exec_lo, s2
	scratch_load_b32 v40, off, off
	v_mov_b64_e32 v[38:39], 0
	v_mov_b64_e32 v[34:35], 0
	;; [unrolled: 1-line block ×5, first 2 shown]
	s_mov_b32 s8, exec_lo
	s_wait_loadcnt 0x0
	v_cmpx_lt_i32_e32 -1, v40
	s_cbranch_execz .LBB4_94
; %bb.89:
	v_lshl_add_u32 v0, v40, 2, v134
	v_mov_b64_e32 v[32:33], 0
	v_mov_b64_e32 v[36:37], 0
	;; [unrolled: 1-line block ×3, first 2 shown]
	s_mov_b32 s9, exec_lo
	ds_load_b32 v66, v0 offset:40
	s_wait_dscnt 0x0
	v_lshl_add_u32 v0, v66, 2, v134
	ds_load_b32 v138, v0 offset:40
	v_mov_b64_e32 v[0:1], 0
	s_wait_dscnt 0x0
	v_cmpx_lt_i32_e32 -1, v138
	s_cbranch_execz .LBB4_93
; %bb.90:
	v_cmp_eq_u32_e32 vcc_lo, 1, v40
	v_cmp_eq_u32_e64 s1, 2, v40
	v_cmp_eq_u32_e64 s2, 3, v40
	;; [unrolled: 1-line block ×4, first 2 shown]
	v_dual_cndmask_b32 v0, v117, v115 :: v_dual_cndmask_b32 v1, v116, v114
	v_cmp_eq_u32_e64 s5, 6, v40
	v_cmp_eq_u32_e64 s6, 7, v40
	;; [unrolled: 1-line block ×3, first 2 shown]
	s_delay_alu instid0(VALU_DEP_4) | instskip(SKIP_3) | instid1(VALU_DEP_4)
	v_dual_cndmask_b32 v0, v0, v113, s1 :: v_dual_cndmask_b32 v1, v1, v112, s1
	v_mov_b64_e32 v[34:35], 0
	v_mov_b64_e32 v[36:37], 0
	;; [unrolled: 1-line block ×3, first 2 shown]
	v_dual_cndmask_b32 v0, v0, v127, s2 :: v_dual_cndmask_b32 v1, v1, v126, s2
	s_mov_b32 s10, 0
	s_delay_alu instid0(VALU_DEP_1) | instskip(NEXT) | instid1(VALU_DEP_1)
	v_dual_cndmask_b32 v0, v0, v129, s3 :: v_dual_cndmask_b32 v1, v1, v128, s3
	v_dual_cndmask_b32 v0, v0, v55, s4 :: v_dual_cndmask_b32 v1, v1, v58, s4
	s_delay_alu instid0(VALU_DEP_1) | instskip(NEXT) | instid1(VALU_DEP_1)
	v_dual_cndmask_b32 v0, v0, v53, s5 :: v_dual_cndmask_b32 v1, v1, v60, s5
	v_dual_cndmask_b32 v0, v0, v51, s6 :: v_dual_cndmask_b32 v1, v1, v62, s6
	s_delay_alu instid0(VALU_DEP_1) | instskip(SKIP_1) | instid1(VALU_DEP_1)
	v_dual_cndmask_b32 v41, v0, v31, s7 :: v_dual_cndmask_b32 v40, v1, v30, s7
	v_dual_cndmask_b32 v0, v13, v15 :: v_dual_cndmask_b32 v1, v12, v14
	v_dual_cndmask_b32 v0, v0, v17, s1 :: v_dual_cndmask_b32 v1, v1, v16, s1
	s_delay_alu instid0(VALU_DEP_1) | instskip(NEXT) | instid1(VALU_DEP_1)
	v_dual_cndmask_b32 v0, v0, v19, s2 :: v_dual_cndmask_b32 v1, v1, v18, s2
	v_dual_cndmask_b32 v0, v0, v21, s3 :: v_dual_cndmask_b32 v1, v1, v20, s3
	s_delay_alu instid0(VALU_DEP_1) | instskip(NEXT) | instid1(VALU_DEP_1)
	v_dual_cndmask_b32 v0, v0, v23, s4 :: v_dual_cndmask_b32 v1, v1, v22, s4
	;; [unrolled: 3-line block ×3, first 2 shown]
	v_dual_cndmask_b32 v43, v0, v29, s7 :: v_dual_cndmask_b32 v42, v1, v28, s7
	v_dual_cndmask_b32 v0, v111, v109 :: v_dual_cndmask_b32 v1, v110, v108
	v_cmp_eq_u32_e32 vcc_lo, 1, v66
	s_delay_alu instid0(VALU_DEP_2) | instskip(SKIP_1) | instid1(VALU_DEP_2)
	v_dual_cndmask_b32 v0, v0, v107, s1 :: v_dual_cndmask_b32 v1, v1, v106, s1
	v_cmp_eq_u32_e64 s1, 2, v66
	v_dual_cndmask_b32 v0, v0, v123, s2 :: v_dual_cndmask_b32 v1, v1, v122, s2
	v_cmp_eq_u32_e64 s2, 3, v66
	s_delay_alu instid0(VALU_DEP_2) | instskip(SKIP_1) | instid1(VALU_DEP_2)
	v_dual_cndmask_b32 v0, v0, v125, s3 :: v_dual_cndmask_b32 v1, v1, v124, s3
	v_cmp_eq_u32_e64 s3, 4, v66
	v_dual_cndmask_b32 v0, v0, v45, s4 :: v_dual_cndmask_b32 v1, v1, v10, s4
	v_cmp_eq_u32_e64 s4, 5, v66
	;; [unrolled: 5-line block ×3, first 2 shown]
	s_delay_alu instid0(VALU_DEP_2) | instskip(SKIP_2) | instid1(VALU_DEP_3)
	v_dual_cndmask_b32 v65, v0, v57, s7 :: v_dual_cndmask_b32 v64, v1, v44, s7
	v_dual_cndmask_b32 v0, v13, v15 :: v_dual_cndmask_b32 v1, v12, v14
	v_cmp_eq_u32_e64 s7, 8, v66
	v_mul_f64_e32 v[68:69], v[64:65], v[40:41]
	s_delay_alu instid0(VALU_DEP_3) | instskip(SKIP_2) | instid1(VALU_DEP_3)
	v_dual_cndmask_b32 v0, v0, v17, s1 :: v_dual_cndmask_b32 v1, v1, v16, s1
	v_mul_f64_e32 v[70:71], v[42:43], v[64:65]
	v_mul_f64_e32 v[72:73], v[64:65], v[64:65]
	v_dual_cndmask_b32 v0, v0, v19, s2 :: v_dual_cndmask_b32 v1, v1, v18, s2
	s_delay_alu instid0(VALU_DEP_1) | instskip(NEXT) | instid1(VALU_DEP_1)
	v_dual_cndmask_b32 v0, v0, v21, s3 :: v_dual_cndmask_b32 v1, v1, v20, s3
	v_dual_cndmask_b32 v0, v0, v23, s4 :: v_dual_cndmask_b32 v1, v1, v22, s4
	s_delay_alu instid0(VALU_DEP_1) | instskip(NEXT) | instid1(VALU_DEP_1)
	v_dual_cndmask_b32 v0, v0, v25, s5 :: v_dual_cndmask_b32 v1, v1, v24, s5
	v_dual_cndmask_b32 v0, v0, v27, s6 :: v_dual_cndmask_b32 v1, v1, v26, s6
	s_delay_alu instid0(VALU_DEP_1) | instskip(SKIP_1) | instid1(VALU_DEP_1)
	v_dual_cndmask_b32 v67, v0, v29, s7 :: v_dual_cndmask_b32 v66, v1, v28, s7
	v_dual_cndmask_b32 v0, v117, v115 :: v_dual_cndmask_b32 v1, v116, v114
	v_dual_add_f64 v[80:81], v[66:67], -v[42:43] :: v_dual_cndmask_b32 v0, v0, v113, s1
	s_delay_alu instid0(VALU_DEP_1) | instskip(NEXT) | instid1(VALU_DEP_1)
	v_dual_cndmask_b32 v1, v1, v112, s1 :: v_dual_cndmask_b32 v0, v0, v127, s2
	v_dual_cndmask_b32 v1, v1, v126, s2 :: v_dual_cndmask_b32 v0, v0, v129, s3
	s_delay_alu instid0(VALU_DEP_1) | instskip(NEXT) | instid1(VALU_DEP_1)
	v_dual_cndmask_b32 v1, v1, v128, s3 :: v_dual_cndmask_b32 v0, v0, v55, s4
	v_dual_cndmask_b32 v1, v1, v58, s4 :: v_dual_cndmask_b32 v0, v0, v53, s5
	;; [unrolled: 3-line block ×3, first 2 shown]
	s_delay_alu instid0(VALU_DEP_1) | instskip(SKIP_1) | instid1(VALU_DEP_2)
	v_dual_cndmask_b32 v74, v1, v30, s7 :: v_dual_cndmask_b32 v0, v111, v109, vcc_lo
	v_cndmask_b32_e32 v1, v110, v108, vcc_lo
	v_dual_add_f64 v[78:79], v[74:75], -v[40:41] :: v_dual_cndmask_b32 v0, v0, v107, s1
	s_delay_alu instid0(VALU_DEP_1) | instskip(NEXT) | instid1(VALU_DEP_1)
	v_dual_cndmask_b32 v1, v1, v106, s1 :: v_dual_cndmask_b32 v0, v0, v123, s2
	v_dual_cndmask_b32 v1, v1, v122, s2 :: v_dual_cndmask_b32 v0, v0, v125, s3
	s_delay_alu instid0(VALU_DEP_1) | instskip(NEXT) | instid1(VALU_DEP_1)
	v_dual_cndmask_b32 v1, v1, v124, s3 :: v_dual_cndmask_b32 v0, v0, v45, s4
	v_dual_cndmask_b32 v1, v1, v10, s4 :: v_dual_cndmask_b32 v0, v0, v49, s5
	s_delay_alu instid0(VALU_DEP_1) | instskip(NEXT) | instid1(VALU_DEP_1)
	v_dual_cndmask_b32 v1, v1, v48, s5 :: v_dual_cndmask_b32 v0, v0, v59, s6
	v_dual_cndmask_b32 v1, v1, v46, s6 :: v_dual_cndmask_b32 v77, v0, v57, s7
	s_delay_alu instid0(VALU_DEP_1)
	v_cndmask_b32_e64 v76, v1, v44, s7
	v_mov_b64_e32 v[0:1], 0
.LBB4_91:                               ; =>This Inner Loop Header: Depth=1
	v_cmp_eq_u32_e32 vcc_lo, 1, v138
	v_cmp_eq_u32_e64 s1, 2, v138
	v_cmp_eq_u32_e64 s2, 3, v138
	;; [unrolled: 1-line block ×4, first 2 shown]
	v_dual_cndmask_b32 v139, v117, v115 :: v_dual_cndmask_b32 v140, v116, v114
	v_cmp_eq_u32_e64 s5, 6, v138
	v_cmp_eq_u32_e64 s6, 7, v138
	;; [unrolled: 1-line block ×3, first 2 shown]
	s_delay_alu instid0(VALU_DEP_4) | instskip(SKIP_2) | instid1(VALU_DEP_3)
	v_dual_cndmask_b32 v139, v139, v113, s1 :: v_dual_cndmask_b32 v140, v140, v112, s1
	v_fma_f64 v[150:151], v[76:77], v[76:77], v[72:73]
	v_add_f64_e32 v[152:153], v[64:65], v[76:77]
	v_dual_cndmask_b32 v142, v12, v14, vcc_lo :: v_dual_cndmask_b32 v139, v139, v127, s2
	s_delay_alu instid0(VALU_DEP_1) | instskip(NEXT) | instid1(VALU_DEP_1)
	v_dual_cndmask_b32 v140, v140, v126, s2 :: v_dual_cndmask_b32 v142, v142, v16, s1
	v_dual_cndmask_b32 v139, v139, v129, s3 :: v_dual_cndmask_b32 v140, v140, v128, s3
	s_delay_alu instid0(VALU_DEP_1) | instskip(NEXT) | instid1(VALU_DEP_1)
	v_dual_cndmask_b32 v142, v142, v18, s2 :: v_dual_cndmask_b32 v139, v139, v55, s4
	v_dual_cndmask_b32 v140, v140, v58, s4 :: v_dual_cndmask_b32 v142, v142, v20, s3
	s_delay_alu instid0(VALU_DEP_1) | instskip(NEXT) | instid1(VALU_DEP_1)
	v_dual_cndmask_b32 v139, v139, v53, s5 :: v_dual_cndmask_b32 v140, v140, v60, s5
	v_dual_cndmask_b32 v142, v142, v22, s4 :: v_dual_cndmask_b32 v139, v139, v51, s6
	s_delay_alu instid0(VALU_DEP_1) | instskip(NEXT) | instid1(VALU_DEP_1)
	v_dual_cndmask_b32 v140, v140, v62, s6 :: v_dual_cndmask_b32 v142, v142, v24, s5
	v_dual_cndmask_b32 v141, v139, v31, s7 :: v_dual_cndmask_b32 v140, v140, v30, s7
	s_delay_alu instid0(VALU_DEP_2) | instskip(NEXT) | instid1(VALU_DEP_2)
	v_dual_cndmask_b32 v139, v13, v15, vcc_lo :: v_dual_cndmask_b32 v142, v142, v26, s6
	v_add_f64_e64 v[144:145], v[140:141], -v[40:41]
	s_delay_alu instid0(VALU_DEP_2) | instskip(NEXT) | instid1(VALU_DEP_1)
	v_dual_cndmask_b32 v139, v139, v17, s1 :: v_dual_cndmask_b32 v142, v142, v28, s7
	v_cndmask_b32_e64 v139, v139, v19, s2
	s_delay_alu instid0(VALU_DEP_1) | instskip(NEXT) | instid1(VALU_DEP_1)
	v_cndmask_b32_e64 v139, v139, v21, s3
	v_cndmask_b32_e64 v139, v139, v23, s4
	s_delay_alu instid0(VALU_DEP_1) | instskip(NEXT) | instid1(VALU_DEP_1)
	v_cndmask_b32_e64 v139, v139, v25, s5
	v_cndmask_b32_e64 v139, v139, v27, s6
	s_delay_alu instid0(VALU_DEP_1) | instskip(SKIP_1) | instid1(VALU_DEP_2)
	v_cndmask_b32_e64 v143, v139, v29, s7
	v_mul_f64_e32 v[80:81], v[144:145], v[80:81]
	v_add_f64_e64 v[146:147], v[142:143], -v[42:43]
	s_delay_alu instid0(VALU_DEP_1) | instskip(SKIP_1) | instid1(VALU_DEP_1)
	v_fma_f64 v[78:79], v[146:147], v[78:79], -v[80:81]
	v_dual_cndmask_b32 v80, v111, v109 :: v_dual_cndmask_b32 v81, v110, v108
	v_dual_cndmask_b32 v80, v80, v107, s1 :: v_dual_cndmask_b32 v81, v81, v106, s1
	s_delay_alu instid0(VALU_DEP_1) | instskip(NEXT) | instid1(VALU_DEP_1)
	v_dual_cndmask_b32 v80, v80, v123, s2 :: v_dual_cndmask_b32 v81, v81, v122, s2
	v_dual_cndmask_b32 v80, v80, v125, s3 :: v_dual_cndmask_b32 v81, v81, v124, s3
	s_delay_alu instid0(VALU_DEP_1) | instskip(NEXT) | instid1(VALU_DEP_1)
	v_dual_cndmask_b32 v80, v80, v45, s4 :: v_dual_cndmask_b32 v81, v81, v10, s4
	;; [unrolled: 3-line block ×3, first 2 shown]
	v_dual_cndmask_b32 v149, v80, v57, s7 :: v_dual_cndmask_b32 v148, v81, v44, s7
	v_add_f64_e32 v[80:81], v[40:41], v[74:75]
	v_fma_f64 v[74:75], v[74:75], v[76:77], v[68:69]
	s_delay_alu instid0(VALU_DEP_3) | instskip(SKIP_1) | instid1(VALU_DEP_4)
	v_fmac_f64_e32 v[150:151], v[148:149], v[148:149]
	v_add_f64_e32 v[152:153], v[148:149], v[152:153]
	v_add_f64_e32 v[80:81], v[80:81], v[140:141]
	s_delay_alu instid0(VALU_DEP_4) | instskip(NEXT) | instid1(VALU_DEP_4)
	v_fmac_f64_e32 v[74:75], v[148:149], v[140:141]
	v_fmac_f64_e32 v[150:151], v[64:65], v[76:77]
	s_delay_alu instid0(VALU_DEP_4) | instskip(SKIP_1) | instid1(VALU_DEP_3)
	v_mul_f64_e32 v[154:155], v[152:153], v[78:79]
	v_fmac_f64_e32 v[34:35], v[152:153], v[78:79]
	v_fmac_f64_e32 v[150:151], v[64:65], v[148:149]
	s_delay_alu instid0(VALU_DEP_3) | instskip(NEXT) | instid1(VALU_DEP_2)
	v_mul_f64_e32 v[80:81], v[80:81], v[154:155]
	v_fmac_f64_e32 v[150:151], v[148:149], v[76:77]
	v_fma_f64 v[76:77], v[66:67], v[76:77], v[70:71]
	v_add_f64_e32 v[66:67], v[42:43], v[66:67]
	s_delay_alu instid0(VALU_DEP_4)
	v_fmac_f64_e32 v[80:81], v[74:75], v[78:79]
	v_mov_b64_e32 v[74:75], v[140:141]
	v_fmac_f64_e32 v[0:1], v[78:79], v[150:151]
	v_fmac_f64_e32 v[76:77], v[142:143], v[148:149]
	v_add_f64_e32 v[66:67], v[142:143], v[66:67]
	v_add_f64_e32 v[36:37], v[36:37], v[80:81]
	v_mov_b64_e32 v[80:81], v[146:147]
	s_delay_alu instid0(VALU_DEP_3) | instskip(NEXT) | instid1(VALU_DEP_1)
	v_mul_f64_e32 v[66:67], v[66:67], v[154:155]
	v_fmac_f64_e32 v[66:67], v[76:77], v[78:79]
	v_mov_b64_e32 v[78:79], v[144:145]
	v_mov_b64_e32 v[76:77], v[148:149]
	s_delay_alu instid0(VALU_DEP_3)
	v_add_f64_e32 v[32:33], v[32:33], v[66:67]
	v_lshl_add_u32 v66, v138, 2, v134
	ds_load_b32 v138, v66 offset:40
	v_mov_b64_e32 v[66:67], v[142:143]
	s_wait_dscnt 0x0
	v_cmp_gt_i32_e32 vcc_lo, 0, v138
	s_or_b32 s10, vcc_lo, s10
	s_delay_alu instid0(SALU_CYCLE_1)
	s_and_not1_b32 exec_lo, exec_lo, s10
	s_cbranch_execnz .LBB4_91
; %bb.92:
	s_or_b32 exec_lo, exec_lo, s10
.LBB4_93:
	s_delay_alu instid0(SALU_CYCLE_1)
	s_or_b32 exec_lo, exec_lo, s9
.LBB4_94:
	s_delay_alu instid0(SALU_CYCLE_1)
	s_or_b32 exec_lo, exec_lo, s8
	s_and_saveexec_b32 s9, s0
	s_cbranch_execz .LBB4_98
; %bb.95:
	v_mov_b32_e32 v38, v135
	s_mov_b64 s[10:11], 0xb58dee7a4ad4b81f
	s_mov_b32 s12, 0
.LBB4_96:                               ; =>This Inner Loop Header: Depth=1
	s_delay_alu instid0(VALU_DEP_1)
	v_cmp_eq_u32_e32 vcc_lo, 1, v38
	v_cmp_eq_u32_e64 s1, 2, v38
	v_cmp_eq_u32_e64 s2, 3, v38
	;; [unrolled: 1-line block ×4, first 2 shown]
	v_dual_cndmask_b32 v39, v121, v119 :: v_dual_cndmask_b32 v40, v120, v118
	v_cmp_eq_u32_e64 s5, 6, v38
	v_cmp_eq_u32_e64 s6, 7, v38
	;; [unrolled: 1-line block ×3, first 2 shown]
	s_delay_alu instid0(VALU_DEP_4) | instskip(SKIP_2) | instid1(VALU_DEP_3)
	v_dual_cndmask_b32 v39, v39, v3, s1 :: v_dual_cndmask_b32 v40, v40, v2, s1
	v_cmp_eq_u32_e64 s8, 0, v38
	v_lshl_add_u32 v38, v38, 2, v134
	v_dual_cndmask_b32 v39, v39, v131, s2 :: v_dual_cndmask_b32 v40, v40, v130, s2
	ds_load_b32 v38, v38
	v_dual_cndmask_b32 v39, v39, v133, s3 :: v_dual_cndmask_b32 v40, v40, v132, s3
	s_delay_alu instid0(VALU_DEP_1) | instskip(NEXT) | instid1(VALU_DEP_1)
	v_dual_cndmask_b32 v39, v39, v11, s4 :: v_dual_cndmask_b32 v40, v40, v56, s4
	v_dual_cndmask_b32 v39, v39, v47, s5 :: v_dual_cndmask_b32 v40, v40, v54, s5
	s_delay_alu instid0(VALU_DEP_1) | instskip(NEXT) | instid1(VALU_DEP_1)
	v_dual_cndmask_b32 v39, v39, v63, s6 :: v_dual_cndmask_b32 v40, v40, v52, s6
	v_dual_cndmask_b32 v41, v39, v61, s7 :: v_dual_cndmask_b32 v40, v40, v50, s7
	s_delay_alu instid0(VALU_DEP_1) | instskip(NEXT) | instid1(VALU_DEP_1)
	v_add_f64_e64 v[40:41], -v[40:41], s[10:11]
	v_dual_cndmask_b32 v119, v119, v41 :: v_dual_cndmask_b32 v118, v118, v40
	s_wait_dscnt 0x0
	v_cmp_gt_i32_e32 vcc_lo, 0, v38
	v_dual_cndmask_b32 v61, v61, v41, s7 :: v_dual_cndmask_b32 v50, v50, v40, s7
	v_dual_cndmask_b32 v63, v63, v41, s6 :: v_dual_cndmask_b32 v52, v52, v40, s6
	;; [unrolled: 1-line block ×8, first 2 shown]
	s_or_b32 s12, vcc_lo, s12
	s_delay_alu instid0(SALU_CYCLE_1)
	s_and_not1_b32 exec_lo, exec_lo, s12
	s_cbranch_execnz .LBB4_96
; %bb.97:
	s_or_b32 exec_lo, exec_lo, s12
	v_cmp_eq_u32_e32 vcc_lo, 1, v135
	v_cmp_eq_u32_e64 s1, 2, v135
	v_dual_cndmask_b32 v38, v121, v119 :: v_dual_cndmask_b32 v39, v120, v118
	v_cmp_eq_u32_e32 vcc_lo, 3, v135
	s_delay_alu instid0(VALU_DEP_2) | instskip(NEXT) | instid1(VALU_DEP_1)
	v_dual_cndmask_b32 v38, v38, v3, s1 :: v_dual_cndmask_b32 v39, v39, v2, s1
	v_dual_cndmask_b32 v38, v38, v131 :: v_dual_cndmask_b32 v39, v39, v130
	v_cmp_eq_u32_e32 vcc_lo, 4, v135
	s_delay_alu instid0(VALU_DEP_2) | instskip(SKIP_1) | instid1(VALU_DEP_2)
	v_dual_cndmask_b32 v38, v38, v133 :: v_dual_cndmask_b32 v39, v39, v132
	v_cmp_eq_u32_e32 vcc_lo, 5, v135
	v_dual_cndmask_b32 v38, v38, v11 :: v_dual_cndmask_b32 v39, v39, v56
	v_cmp_eq_u32_e32 vcc_lo, 6, v135
	s_delay_alu instid0(VALU_DEP_2) | instskip(SKIP_1) | instid1(VALU_DEP_2)
	v_dual_cndmask_b32 v38, v38, v47 :: v_dual_cndmask_b32 v39, v39, v54
	v_cmp_eq_u32_e32 vcc_lo, 7, v135
	v_dual_cndmask_b32 v38, v38, v63, vcc_lo :: v_dual_cndmask_b32 v40, v39, v52, vcc_lo
	v_cmp_eq_u32_e32 vcc_lo, 8, v135
	s_delay_alu instid0(VALU_DEP_2)
	v_dual_cndmask_b32 v39, v38, v61 :: v_dual_cndmask_b32 v38, v40, v50
.LBB4_98:
	s_or_b32 exec_lo, exec_lo, s9
	v_mov_b64_e32 v[42:43], -1
	v_mov_b64_e32 v[64:65], -1
	s_delay_alu instid0(VALU_DEP_3)
	v_mov_b64_e32 v[40:41], v[38:39]
	v_dual_mov_b32 v43, -1 :: v_dual_mov_b32 v65, -1
	s_and_saveexec_b32 s5, s0
	s_cbranch_execz .LBB4_102
; %bb.99:
	v_mov_b64_e32 v[66:67], v[38:39]
	v_dual_mov_b32 v43, -1 :: v_dual_mov_b32 v68, v135
	v_dual_mov_b32 v42, -1 :: v_dual_mov_b32 v64, -1
	v_mov_b32_e32 v65, -1
	s_mov_b32 s6, 0
.LBB4_100:                              ; =>This Inner Loop Header: Depth=1
	s_delay_alu instid0(VALU_DEP_1) | instskip(SKIP_4) | instid1(VALU_DEP_1)
	v_lshl_add_u32 v40, v68, 2, v134
	ds_load_b32 v69, v40
	s_wait_dscnt 0x0
	v_cmp_gt_i32_e32 vcc_lo, 0, v69
	v_cndmask_b32_e32 v72, v69, v135, vcc_lo
	v_cmp_eq_u32_e64 s1, 1, v72
	s_delay_alu instid0(VALU_DEP_1) | instskip(SKIP_2) | instid1(VALU_DEP_2)
	v_dual_cndmask_b32 v41, v120, v118, s1 :: v_dual_cndmask_b32 v40, v121, v119, s1
	v_cmp_eq_u32_e64 s2, 2, v72
	v_cmp_eq_u32_e64 s1, 3, v72
	v_dual_cndmask_b32 v40, v40, v3, s2 :: v_dual_cndmask_b32 v41, v41, v2, s2
	s_delay_alu instid0(VALU_DEP_1) | instskip(SKIP_1) | instid1(VALU_DEP_1)
	v_dual_cndmask_b32 v40, v40, v131, s1 :: v_dual_cndmask_b32 v41, v41, v130, s1
	v_cmp_eq_u32_e64 s1, 4, v72
	v_dual_cndmask_b32 v40, v40, v133, s1 :: v_dual_cndmask_b32 v41, v41, v132, s1
	v_cmp_eq_u32_e64 s1, 5, v72
	s_delay_alu instid0(VALU_DEP_1) | instskip(SKIP_1) | instid1(VALU_DEP_1)
	v_dual_cndmask_b32 v40, v40, v11, s1 :: v_dual_cndmask_b32 v41, v41, v56, s1
	v_cmp_eq_u32_e64 s1, 6, v72
	v_dual_cndmask_b32 v40, v40, v47, s1 :: v_dual_cndmask_b32 v41, v41, v54, s1
	v_cmp_eq_u32_e64 s1, 7, v72
	s_delay_alu instid0(VALU_DEP_1) | instskip(SKIP_1) | instid1(VALU_DEP_1)
	v_dual_cndmask_b32 v40, v40, v63, s1 :: v_dual_cndmask_b32 v41, v41, v52, s1
	v_cmp_eq_u32_e64 s1, 8, v72
	v_dual_cndmask_b32 v71, v40, v61, s1 :: v_dual_cndmask_b32 v70, v41, v50, s1
	v_mov_b64_e32 v[40:41], v[66:67]
	s_delay_alu instid0(VALU_DEP_2) | instskip(SKIP_2) | instid1(VALU_DEP_4)
	v_cmp_gt_f64_e64 s2, 0, v[70:71]
	v_cmp_le_f64_e64 s4, 0, v[70:71]
	v_mov_b64_e32 v[66:67], v[70:71]
	v_cmp_le_f64_e64 s1, 0, v[40:41]
	v_cmp_gt_f64_e64 s3, 0, v[40:41]
	s_and_b32 s1, s1, s2
	s_and_b32 s2, s3, s4
	s_delay_alu instid0(SALU_CYCLE_1) | instskip(SKIP_3) | instid1(SALU_CYCLE_1)
	v_dual_cndmask_b32 v64, v64, v72, s1 :: v_dual_cndmask_b32 v65, v65, v72, s2
	v_dual_cndmask_b32 v43, v43, v68, s1 :: v_dual_cndmask_b32 v42, v42, v68, s2
	v_mov_b32_e32 v68, v69
	s_or_b32 s6, vcc_lo, s6
	s_and_not1_b32 exec_lo, exec_lo, s6
	s_cbranch_execnz .LBB4_100
; %bb.101:
	s_or_b32 exec_lo, exec_lo, s6
.LBB4_102:
	s_delay_alu instid0(SALU_CYCLE_1)
	s_or_b32 exec_lo, exec_lo, s5
	v_dual_mov_b32 v66, -1 :: v_dual_mov_b32 v68, -1
	v_cmp_lt_i32_e64 s1, -1, v43
	v_mov_b32_e32 v67, -1
	s_and_saveexec_b32 s27, s1
	s_cbranch_execz .LBB4_104
; %bb.103:
	v_cmp_eq_u32_e64 s2, 1, v64
	v_cmp_eq_u32_e64 s3, 2, v64
	;; [unrolled: 1-line block ×5, first 2 shown]
	v_cndmask_b32_e64 v67, v121, v119, s2
	v_cmp_eq_u32_e64 s9, 6, v64
	v_cmp_eq_u32_e64 s10, 7, v64
	v_cmp_eq_u32_e64 s11, 8, v64
	s_delay_alu instid0(VALU_DEP_4) | instskip(SKIP_3) | instid1(VALU_DEP_4)
	v_dual_cndmask_b32 v64, v120, v118, s2 :: v_dual_cndmask_b32 v67, v67, v3, s3
	v_cmp_eq_u32_e64 s12, 1, v43
	v_cmp_eq_u32_e64 s13, 2, v43
	v_cmp_eq_u32_e64 s14, 3, v43
	v_dual_cndmask_b32 v64, v64, v2, s3 :: v_dual_cndmask_b32 v67, v67, v131, s4
	v_cmp_eq_u32_e64 s15, 4, v43
	v_cmp_eq_u32_e64 s16, 5, v43
	v_cmp_eq_u32_e64 s17, 6, v43
	s_delay_alu instid0(VALU_DEP_4) | instskip(SKIP_3) | instid1(VALU_DEP_4)
	v_dual_cndmask_b32 v64, v64, v130, s4 :: v_dual_cndmask_b32 v67, v67, v133, s5
	v_cmp_eq_u32_e64 s18, 7, v43
	v_cmp_eq_u32_e64 s19, 8, v43
	v_cmp_eq_u32_e64 s8, 5, v136
	v_dual_cndmask_b32 v64, v64, v132, s5 :: v_dual_cndmask_b32 v67, v67, v11, s6
	;; [unrolled: 9-line block ×3, first 2 shown]
	v_cmp_eq_u32_e64 s24, 4, v136
	s_delay_alu instid0(VALU_DEP_2) | instskip(SKIP_1) | instid1(VALU_DEP_2)
	v_dual_cndmask_b32 v64, v64, v52, s10 :: v_dual_cndmask_b32 v69, v67, v61, s11
	v_cndmask_b32_e64 v67, v120, v118, s12
	v_dual_cndmask_b32 v68, v64, v50, s11 :: v_dual_cndmask_b32 v64, v121, v119, s12
	s_delay_alu instid0(VALU_DEP_2) | instskip(NEXT) | instid1(VALU_DEP_2)
	v_cndmask_b32_e64 v67, v67, v2, s13
	v_add_f64_e64 v[72:73], -v[68:69], 0
	s_delay_alu instid0(VALU_DEP_2) | instskip(NEXT) | instid1(VALU_DEP_1)
	v_dual_cndmask_b32 v64, v64, v3, s13 :: v_dual_cndmask_b32 v67, v67, v130, s14
	v_dual_cndmask_b32 v64, v64, v131, s14 :: v_dual_cndmask_b32 v67, v67, v132, s15
	s_delay_alu instid0(VALU_DEP_1) | instskip(NEXT) | instid1(VALU_DEP_1)
	v_dual_cndmask_b32 v64, v64, v133, s15 :: v_dual_cndmask_b32 v67, v67, v56, s16
	v_dual_cndmask_b32 v64, v64, v11, s16 :: v_dual_cndmask_b32 v67, v67, v54, s17
	s_delay_alu instid0(VALU_DEP_1) | instskip(NEXT) | instid1(VALU_DEP_1)
	v_dual_cndmask_b32 v64, v64, v47, s17 :: v_dual_cndmask_b32 v67, v67, v52, s18
	v_dual_cndmask_b32 v64, v64, v63, s18 :: v_dual_cndmask_b32 v70, v67, v50, s19
	v_cndmask_b32_e64 v67, v116, v114, s12
	s_delay_alu instid0(VALU_DEP_2) | instskip(NEXT) | instid1(VALU_DEP_2)
	v_dual_cndmask_b32 v71, v64, v61, s19 :: v_dual_cndmask_b32 v64, v117, v115, s12
	v_cndmask_b32_e64 v67, v67, v112, s13
	s_delay_alu instid0(VALU_DEP_2) | instskip(NEXT) | instid1(VALU_DEP_2)
	v_add_f64_e64 v[74:75], v[70:71], -v[68:69]
	v_dual_cndmask_b32 v64, v64, v113, s13 :: v_dual_cndmask_b32 v67, v67, v126, s14
	s_delay_alu instid0(VALU_DEP_1) | instskip(NEXT) | instid1(VALU_DEP_1)
	v_dual_cndmask_b32 v67, v67, v128, s15 :: v_dual_cndmask_b32 v64, v64, v127, s14
	v_dual_cndmask_b32 v67, v67, v58, s16 :: v_dual_cndmask_b32 v64, v64, v129, s15
	s_delay_alu instid0(VALU_DEP_1) | instskip(NEXT) | instid1(VALU_DEP_1)
	v_dual_cndmask_b32 v67, v67, v60, s17 :: v_dual_cndmask_b32 v64, v64, v55, s16
	v_dual_cndmask_b32 v67, v67, v62, s18 :: v_dual_cndmask_b32 v64, v64, v53, s17
	v_div_scale_f64 v[76:77], null, v[74:75], v[74:75], v[72:73]
	s_delay_alu instid0(VALU_DEP_1) | instskip(SKIP_1) | instid1(TRANS32_DEP_1)
	v_rcp_f64_e32 v[78:79], v[76:77]
	v_nop
	v_fma_f64 v[80:81], -v[76:77], v[78:79], 1.0
	s_delay_alu instid0(VALU_DEP_1) | instskip(NEXT) | instid1(VALU_DEP_1)
	v_fmac_f64_e32 v[78:79], v[78:79], v[80:81]
	v_fma_f64 v[80:81], -v[76:77], v[78:79], 1.0
	s_delay_alu instid0(VALU_DEP_1) | instskip(SKIP_1) | instid1(VALU_DEP_1)
	v_fmac_f64_e32 v[78:79], v[78:79], v[80:81]
	v_div_scale_f64 v[80:81], vcc_lo, v[72:73], v[74:75], v[72:73]
	v_mul_f64_e32 v[138:139], v[80:81], v[78:79]
	s_delay_alu instid0(VALU_DEP_1) | instskip(NEXT) | instid1(VALU_DEP_1)
	v_fma_f64 v[76:77], -v[76:77], v[138:139], v[80:81]
	v_div_fmas_f64 v[76:77], v[76:77], v[78:79], v[138:139]
	v_cmp_eq_u32_e32 vcc_lo, 8, v136
	s_delay_alu instid0(VALU_DEP_2) | instskip(SKIP_2) | instid1(VALU_DEP_1)
	v_div_fixup_f64 v[72:73], v[76:77], v[74:75], v[72:73]
	v_cndmask_b32_e64 v74, v67, v30, s19
	v_cndmask_b32_e64 v67, v116, v114, s2
	v_dual_cndmask_b32 v64, v64, v51, s18 :: v_dual_cndmask_b32 v67, v67, v112, s3
	s_delay_alu instid0(VALU_DEP_1) | instskip(NEXT) | instid1(VALU_DEP_2)
	v_cndmask_b32_e64 v75, v64, v31, s19
	v_dual_cndmask_b32 v64, v117, v115, s2 :: v_dual_cndmask_b32 v67, v67, v126, s4
	s_delay_alu instid0(VALU_DEP_1) | instskip(NEXT) | instid1(VALU_DEP_1)
	v_dual_cndmask_b32 v64, v64, v113, s3 :: v_dual_cndmask_b32 v67, v67, v128, s5
	v_dual_cndmask_b32 v64, v64, v127, s4 :: v_dual_cndmask_b32 v67, v67, v58, s6
	s_delay_alu instid0(VALU_DEP_1) | instskip(NEXT) | instid1(VALU_DEP_1)
	v_dual_cndmask_b32 v64, v64, v129, s5 :: v_dual_cndmask_b32 v67, v67, v60, s9
	v_cndmask_b32_e64 v64, v64, v55, s6
	v_add_f64_e64 v[78:79], -v[72:73], 1.0
	s_delay_alu instid0(VALU_DEP_2) | instskip(NEXT) | instid1(VALU_DEP_1)
	v_dual_cndmask_b32 v67, v67, v62, s10 :: v_dual_cndmask_b32 v64, v64, v53, s9
	v_dual_cndmask_b32 v76, v67, v30, s11 :: v_dual_cndmask_b32 v64, v64, v51, s10
	v_cndmask_b32_e64 v67, v12, v14, s2
	s_delay_alu instid0(VALU_DEP_1) | instskip(NEXT) | instid1(VALU_DEP_1)
	v_dual_cndmask_b32 v77, v64, v31, s11 :: v_dual_cndmask_b32 v67, v67, v16, s3
	v_dual_cndmask_b32 v64, v13, v15, s2 :: v_dual_cndmask_b32 v67, v67, v18, s4
	s_delay_alu instid0(VALU_DEP_1) | instskip(NEXT) | instid1(VALU_DEP_1)
	v_dual_cndmask_b32 v64, v64, v17, s3 :: v_dual_cndmask_b32 v67, v67, v20, s5
	v_dual_cndmask_b32 v64, v64, v19, s4 :: v_dual_cndmask_b32 v67, v67, v22, s6
	s_delay_alu instid0(VALU_DEP_1) | instskip(NEXT) | instid1(VALU_DEP_2)
	v_cndmask_b32_e64 v64, v64, v21, s5
	v_dual_mul_f64 v[76:77], v[76:77], v[78:79] :: v_dual_cndmask_b32 v67, v67, v24, s9
	s_delay_alu instid0(VALU_DEP_1) | instskip(NEXT) | instid1(VALU_DEP_1)
	v_dual_cndmask_b32 v64, v64, v23, s6 :: v_dual_cndmask_b32 v67, v67, v26, s10
	v_cndmask_b32_e64 v64, v64, v25, s9
	s_delay_alu instid0(VALU_DEP_1) | instskip(NEXT) | instid1(VALU_DEP_4)
	v_cndmask_b32_e64 v64, v64, v27, s10
	v_fmac_f64_e32 v[76:77], v[74:75], v[72:73]
	s_delay_alu instid0(VALU_DEP_4) | instskip(NEXT) | instid1(VALU_DEP_3)
	v_dual_cndmask_b32 v74, v67, v28, s11 :: v_dual_cndmask_b32 v67, v12, v14, s12
	v_dual_cndmask_b32 v75, v64, v29, s11 :: v_dual_cndmask_b32 v64, v13, v15, s12
	s_delay_alu instid0(VALU_DEP_2) | instskip(NEXT) | instid1(VALU_DEP_2)
	v_cndmask_b32_e64 v67, v67, v16, s13
	v_dual_mul_f64 v[74:75], v[74:75], v[78:79] :: v_dual_cndmask_b32 v64, v64, v17, s13
	s_delay_alu instid0(VALU_DEP_1) | instskip(NEXT) | instid1(VALU_DEP_1)
	v_dual_cndmask_b32 v67, v67, v18, s14 :: v_dual_cndmask_b32 v64, v64, v19, s14
	v_dual_cndmask_b32 v67, v67, v20, s15 :: v_dual_cndmask_b32 v64, v64, v21, s15
	s_delay_alu instid0(VALU_DEP_1) | instskip(NEXT) | instid1(VALU_DEP_1)
	v_dual_cndmask_b32 v67, v67, v22, s16 :: v_dual_cndmask_b32 v64, v64, v23, s16
	v_dual_cndmask_b32 v67, v67, v24, s17 :: v_dual_cndmask_b32 v64, v64, v25, s17
	s_delay_alu instid0(VALU_DEP_1) | instskip(NEXT) | instid1(VALU_DEP_2)
	v_dual_cndmask_b32 v67, v67, v26, s18 :: v_dual_cndmask_b32 v58, v58, v76, s8
	v_dual_cndmask_b32 v64, v64, v27, s18 :: v_dual_cndmask_b32 v30, v30, v76, vcc_lo
	v_dual_cndmask_b32 v62, v62, v76, s25 :: v_dual_cndmask_b32 v60, v60, v76, s7
	s_delay_alu instid0(VALU_DEP_2)
	v_dual_cndmask_b32 v80, v67, v28, s19 :: v_dual_cndmask_b32 v81, v64, v29, s19
	v_dual_cndmask_b32 v64, v128, v76, s24 :: v_dual_cndmask_b32 v114, v114, v76, s22
	v_cndmask_b32_e64 v55, v55, v77, s8
	v_dual_cndmask_b32 v31, v31, v77, vcc_lo :: v_dual_cndmask_b32 v53, v53, v77, s7
	v_cndmask_b32_e64 v115, v115, v77, s22
	v_fmac_f64_e32 v[74:75], v[80:81], v[72:73]
	v_dual_cndmask_b32 v80, v126, v76, s20 :: v_dual_cndmask_b32 v81, v112, v76, s21
	v_dual_cndmask_b32 v76, v116, v76, s23 :: v_dual_cndmask_b32 v127, v127, v77, s20
	s_delay_alu instid0(VALU_DEP_3)
	v_dual_cndmask_b32 v113, v113, v77, s21 :: v_dual_cndmask_b32 v28, v28, v74, vcc_lo
	v_cndmask_b32_e64 v128, v18, v74, s20
	v_dual_cndmask_b32 v26, v26, v74, s25 :: v_dual_cndmask_b32 v112, v24, v74, s7
	v_cndmask_b32_e64 v139, v14, v74, s22
	v_dual_cndmask_b32 v116, v22, v74, s8 :: v_dual_cndmask_b32 v126, v20, v74, s24
	v_dual_cndmask_b32 v29, v29, v75, vcc_lo :: v_dual_cndmask_b32 v138, v16, v74, s21
	v_dual_cndmask_b32 v27, v27, v75, s25 :: v_dual_cndmask_b32 v74, v12, v74, s23
	v_dual_cndmask_b32 v140, v25, v75, s7 :: v_dual_cndmask_b32 v141, v23, v75, s8
	;; [unrolled: 1-line block ×6, first 2 shown]
	v_cmp_eq_u32_e64 s2, 4, v65
	s_delay_alu instid0(VALU_DEP_3) | instskip(NEXT) | instid1(VALU_DEP_3)
	v_dual_cndmask_b32 v13, v13, v106, s3 :: v_dual_cndmask_b32 v51, v51, v77, s25
	v_dual_cndmask_b32 v12, v12, v107, s3 :: v_dual_cndmask_b32 v15, v15, v106, s13
	v_cmp_eq_u32_e64 s3, 5, v65
	s_delay_alu instid0(VALU_DEP_2) | instskip(NEXT) | instid1(VALU_DEP_3)
	v_dual_cndmask_b32 v13, v13, v122, s4 :: v_dual_cndmask_b32 v12, v12, v123, s4
	v_cndmask_b32_e64 v15, v15, v122, s14
	v_cmp_eq_u32_e64 s4, 6, v65
	s_delay_alu instid0(VALU_DEP_3) | instskip(NEXT) | instid1(VALU_DEP_3)
	v_dual_cndmask_b32 v13, v13, v124, s5 :: v_dual_cndmask_b32 v12, v12, v125, s5
	v_cndmask_b32_e64 v15, v15, v124, s15
	v_cmp_eq_u32_e64 s5, 7, v65
	s_delay_alu instid0(VALU_DEP_3) | instskip(NEXT) | instid1(VALU_DEP_3)
	v_dual_cndmask_b32 v13, v13, v10, s6 :: v_dual_cndmask_b32 v12, v12, v45, s6
	v_cndmask_b32_e64 v15, v15, v10, s16
	v_cmp_eq_u32_e64 s6, 8, v65
	s_delay_alu instid0(VALU_DEP_3) | instskip(NEXT) | instid1(VALU_DEP_3)
	v_dual_cndmask_b32 v13, v13, v48, s9 :: v_dual_cndmask_b32 v12, v12, v49, s9
	v_cndmask_b32_e64 v15, v15, v48, s17
	v_cmp_eq_u32_e64 s9, 3, v65
	s_delay_alu instid0(VALU_DEP_3) | instskip(NEXT) | instid1(VALU_DEP_3)
	v_dual_cndmask_b32 v14, v13, v46, s10 :: v_dual_cndmask_b32 v12, v12, v59, s10
	v_cndmask_b32_e64 v16, v15, v46, s18
	v_cmp_eq_u32_e64 s10, 1, v42
	s_delay_alu instid0(VALU_DEP_3) | instskip(SKIP_3) | instid1(VALU_DEP_3)
	v_dual_cndmask_b32 v13, v12, v57, s11 :: v_dual_cndmask_b32 v12, v14, v44, s11
	v_cndmask_b32_e64 v14, v111, v109, s12
	v_cmp_eq_u32_e64 s11, 4, v42
	v_cmp_eq_u32_e64 s12, 5, v42
	v_cndmask_b32_e64 v14, v14, v107, s13
	v_cmp_eq_u32_e64 s13, 6, v42
	s_delay_alu instid0(VALU_DEP_2) | instskip(SKIP_1) | instid1(VALU_DEP_2)
	v_cndmask_b32_e64 v14, v14, v123, s14
	v_cmp_eq_u32_e64 s14, 7, v42
	v_cndmask_b32_e64 v14, v14, v125, s15
	v_cmp_eq_u32_e64 s15, 8, v42
	s_delay_alu instid0(VALU_DEP_2) | instskip(SKIP_1) | instid1(VALU_DEP_2)
	v_cndmask_b32_e64 v14, v14, v45, s16
	v_cmp_eq_u32_e64 s16, 3, v42
	v_cndmask_b32_e64 v14, v14, v49, s17
	v_cmp_eq_u32_e64 s17, 2, v42
	v_mul_f64_e32 v[12:13], v[12:13], v[78:79]
	v_cndmask_b32_e64 v42, v129, v77, s24
	s_delay_alu instid0(VALU_DEP_4) | instskip(SKIP_1) | instid1(VALU_DEP_2)
	v_dual_cndmask_b32 v77, v117, v77, s23 :: v_dual_cndmask_b32 v14, v14, v59, s18
	v_cmp_eq_u32_e64 s18, 2, v65
	v_dual_cndmask_b32 v15, v14, v57, s19 :: v_dual_cndmask_b32 v14, v16, v44, s19
	v_cmp_eq_u32_e64 s19, 1, v65
	s_delay_alu instid0(VALU_DEP_2) | instskip(SKIP_1) | instid1(VALU_DEP_2)
	v_fmac_f64_e32 v[12:13], v[14:15], v[72:73]
	v_mul_f64_e32 v[14:15], v[68:69], v[78:79]
	v_dual_cndmask_b32 v48, v48, v12, s7 :: v_dual_cndmask_b32 v148, v10, v12, s8
	s_delay_alu instid0(VALU_DEP_2)
	v_fmac_f64_e32 v[14:15], v[70:71], v[72:73]
	v_cndmask_b32_e64 v124, v124, v12, s24
	v_cndmask_b32_e64 v108, v108, v12, s22
	v_dual_cndmask_b32 v146, v44, v12, vcc_lo :: v_dual_cndmask_b32 v147, v46, v12, s25
	v_dual_cndmask_b32 v57, v57, v13, vcc_lo :: v_dual_cndmask_b32 v59, v59, v13, s25
	v_dual_cndmask_b32 v122, v122, v12, s20 :: v_dual_cndmask_b32 v49, v49, v13, s7
	v_dual_cndmask_b32 v106, v106, v12, s21 :: v_dual_cndmask_b32 v151, v45, v13, s8
	;; [unrolled: 1-line block ×4, first 2 shown]
	v_cndmask_b32_e64 v107, v107, v13, s21
	v_dual_cndmask_b32 v111, v111, v13, s23 :: v_dual_cndmask_b32 v12, v77, v115, s19
	v_cndmask_b32_e64 v13, v76, v114, s19
	v_dual_cndmask_b32 v118, v118, v14, s22 :: v_dual_cndmask_b32 v120, v120, v14, s23
	v_dual_cndmask_b32 v149, v2, v14, s21 :: v_dual_cndmask_b32 v119, v119, v15, s22
	;; [unrolled: 1-line block ×3, first 2 shown]
	s_delay_alu instid0(VALU_DEP_3) | instskip(SKIP_2) | instid1(VALU_DEP_4)
	v_dual_cndmask_b32 v150, v3, v15, s21 :: v_dual_cndmask_b32 v3, v120, v118, s10
	v_dual_cndmask_b32 v78, v11, v15, s8 :: v_dual_cndmask_b32 v79, v130, v14, s20
	v_cndmask_b32_e64 v130, v133, v15, s24
	v_dual_cndmask_b32 v2, v121, v119, s10 :: v_dual_cndmask_b32 v10, v121, v119, s19
	s_delay_alu instid0(VALU_DEP_4) | instskip(SKIP_1) | instid1(VALU_DEP_2)
	v_dual_cndmask_b32 v11, v120, v118, s19 :: v_dual_cndmask_b32 v3, v3, v149, s17
	v_dual_cndmask_b32 v69, v47, v15, s7 :: v_dual_cndmask_b32 v68, v132, v14, s24
	;; [unrolled: 1-line block ×3, first 2 shown]
	s_delay_alu instid0(VALU_DEP_3) | instskip(SKIP_1) | instid1(VALU_DEP_3)
	v_dual_cndmask_b32 v3, v3, v79, s16 :: v_dual_cndmask_b32 v54, v54, v14, s7
	v_cndmask_b32_e64 v56, v56, v14, s8
	v_dual_cndmask_b32 v10, v10, v150, s18 :: v_dual_cndmask_b32 v11, v11, v79, s9
	s_delay_alu instid0(VALU_DEP_3) | instskip(SKIP_1) | instid1(VALU_DEP_3)
	v_dual_cndmask_b32 v2, v2, v131, s16 :: v_dual_cndmask_b32 v3, v3, v68, s11
	v_dual_cndmask_b32 v50, v50, v14, vcc_lo :: v_dual_cndmask_b32 v52, v52, v14, s25
	v_dual_cndmask_b32 v10, v10, v131, s9 :: v_dual_cndmask_b32 v11, v11, v68, s2
	s_delay_alu instid0(VALU_DEP_3) | instskip(SKIP_1) | instid1(VALU_DEP_3)
	v_dual_cndmask_b32 v2, v2, v130, s11 :: v_dual_cndmask_b32 v3, v3, v56, s12
	v_dual_cndmask_b32 v61, v61, v15, vcc_lo :: v_dual_cndmask_b32 v63, v63, v15, s25
	v_dual_cndmask_b32 v10, v10, v130, s2 :: v_dual_cndmask_b32 v11, v11, v56, s3
	s_delay_alu instid0(VALU_DEP_3) | instskip(NEXT) | instid1(VALU_DEP_4)
	v_cndmask_b32_e64 v3, v3, v54, s13
	v_cndmask_b32_e64 v2, v2, v78, s12
	s_delay_alu instid0(VALU_DEP_3) | instskip(NEXT) | instid1(VALU_DEP_3)
	v_cndmask_b32_e64 v11, v11, v54, s4
	v_dual_cndmask_b32 v10, v10, v78, s3 :: v_dual_cndmask_b32 v14, v3, v52, s14
	s_delay_alu instid0(VALU_DEP_2) | instskip(NEXT) | instid1(VALU_DEP_2)
	v_dual_cndmask_b32 v2, v2, v69, s13 :: v_dual_cndmask_b32 v15, v11, v52, s5
	v_cndmask_b32_e64 v10, v10, v69, s4
	s_delay_alu instid0(VALU_DEP_2) | instskip(NEXT) | instid1(VALU_DEP_2)
	v_cndmask_b32_e64 v2, v2, v63, s14
	v_cndmask_b32_e64 v10, v10, v63, s5
	s_delay_alu instid0(VALU_DEP_1) | instskip(NEXT) | instid1(VALU_DEP_3)
	v_dual_cndmask_b32 v11, v10, v61, s6 :: v_dual_cndmask_b32 v10, v15, v50, s6
	v_cndmask_b32_e64 v3, v2, v61, s15
	v_cndmask_b32_e64 v2, v14, v50, s15
	s_delay_alu instid0(VALU_DEP_1) | instskip(NEXT) | instid1(VALU_DEP_4)
	v_add_f64_e64 v[14:15], -v[2:3], 0
	v_add_f64_e64 v[16:17], v[10:11], -v[2:3]
	s_delay_alu instid0(VALU_DEP_1) | instskip(NEXT) | instid1(VALU_DEP_1)
	v_div_scale_f64 v[18:19], null, v[16:17], v[16:17], v[14:15]
	v_rcp_f64_e32 v[20:21], v[18:19]
	v_nop
	s_delay_alu instid0(TRANS32_DEP_1) | instskip(NEXT) | instid1(VALU_DEP_1)
	v_fma_f64 v[22:23], -v[18:19], v[20:21], 1.0
	v_fmac_f64_e32 v[20:21], v[20:21], v[22:23]
	s_delay_alu instid0(VALU_DEP_1) | instskip(NEXT) | instid1(VALU_DEP_1)
	v_fma_f64 v[22:23], -v[18:19], v[20:21], 1.0
	v_fmac_f64_e32 v[20:21], v[20:21], v[22:23]
	v_div_scale_f64 v[22:23], vcc_lo, v[14:15], v[16:17], v[14:15]
	s_delay_alu instid0(VALU_DEP_1) | instskip(NEXT) | instid1(VALU_DEP_1)
	v_mul_f64_e32 v[24:25], v[22:23], v[20:21]
	v_fma_f64 v[18:19], -v[18:19], v[24:25], v[22:23]
	v_cndmask_b32_e64 v23, v110, v108, s19
	s_delay_alu instid0(VALU_DEP_1) | instskip(NEXT) | instid1(VALU_DEP_1)
	v_cndmask_b32_e64 v23, v23, v106, s18
	v_cndmask_b32_e64 v23, v23, v122, s9
	s_delay_alu instid0(VALU_DEP_4) | instskip(SKIP_2) | instid1(VALU_DEP_2)
	v_div_fmas_f64 v[18:19], v[18:19], v[20:21], v[24:25]
	v_dual_cndmask_b32 v20, v75, v145, s10 :: v_dual_cndmask_b32 v21, v74, v139, s10
	v_cndmask_b32_e64 v25, v110, v108, s10
	v_dual_cndmask_b32 v20, v20, v144, s17 :: v_dual_cndmask_b32 v21, v21, v138, s17
	s_delay_alu instid0(VALU_DEP_1) | instskip(NEXT) | instid1(VALU_DEP_2)
	v_dual_cndmask_b32 v25, v25, v106, s17 :: v_dual_cndmask_b32 v20, v20, v143, s16
	v_cndmask_b32_e64 v21, v21, v128, s16
	v_div_fixup_f64 v[14:15], v[18:19], v[16:17], v[14:15]
	v_dual_cndmask_b32 v16, v77, v115, s10 :: v_dual_cndmask_b32 v17, v76, v114, s10
	v_dual_cndmask_b32 v18, v75, v145, s19 :: v_dual_cndmask_b32 v19, v74, v139, s19
	v_cndmask_b32_e64 v12, v12, v113, s18
	v_cndmask_b32_e64 v13, v13, v81, s18
	s_delay_alu instid0(VALU_DEP_4) | instskip(NEXT) | instid1(VALU_DEP_4)
	v_cndmask_b32_e64 v16, v16, v113, s17
	v_dual_cndmask_b32 v17, v17, v81, s17 :: v_dual_cndmask_b32 v18, v18, v144, s18
	s_delay_alu instid0(VALU_DEP_4) | instskip(NEXT) | instid1(VALU_DEP_3)
	v_dual_cndmask_b32 v19, v19, v138, s18 :: v_dual_cndmask_b32 v44, v12, v127, s9
	v_dual_cndmask_b32 v45, v13, v80, s9 :: v_dual_cndmask_b32 v16, v16, v127, s16
	s_delay_alu instid0(VALU_DEP_3) | instskip(NEXT) | instid1(VALU_DEP_4)
	v_dual_cndmask_b32 v17, v17, v80, s16 :: v_dual_cndmask_b32 v22, v111, v109, s19
	v_dual_cndmask_b32 v46, v18, v143, s9 :: v_dual_cndmask_b32 v24, v111, v109, s10
	s_delay_alu instid0(VALU_DEP_2) | instskip(NEXT) | instid1(VALU_DEP_3)
	v_dual_cndmask_b32 v16, v16, v42, s11 :: v_dual_cndmask_b32 v17, v17, v64, s11
	v_dual_cndmask_b32 v18, v20, v142, s11 :: v_dual_cndmask_b32 v22, v22, v107, s18
	;; [unrolled: 1-line block ×3, first 2 shown]
	s_delay_alu instid0(VALU_DEP_3) | instskip(NEXT) | instid1(VALU_DEP_3)
	v_dual_cndmask_b32 v16, v16, v55, s12 :: v_dual_cndmask_b32 v17, v17, v58, s12
	v_dual_cndmask_b32 v24, v24, v107, s17 :: v_dual_cndmask_b32 v18, v18, v141, s12
	s_delay_alu instid0(VALU_DEP_3) | instskip(NEXT) | instid1(VALU_DEP_3)
	v_dual_cndmask_b32 v19, v20, v116, s12 :: v_dual_cndmask_b32 v22, v22, v123, s9
	v_dual_cndmask_b32 v16, v16, v53, s13 :: v_dual_cndmask_b32 v17, v17, v60, s13
	s_delay_alu instid0(VALU_DEP_3) | instskip(SKIP_1) | instid1(VALU_DEP_3)
	v_cndmask_b32_e64 v20, v24, v123, s16
	v_add_f64_e64 v[12:13], -v[14:15], 1.0
	v_dual_cndmask_b32 v18, v18, v140, s13 :: v_dual_cndmask_b32 v16, v16, v51, s14
	s_delay_alu instid0(VALU_DEP_4) | instskip(NEXT) | instid1(VALU_DEP_2)
	v_dual_cndmask_b32 v19, v19, v112, s13 :: v_dual_cndmask_b32 v24, v17, v62, s14
	v_dual_cndmask_b32 v25, v25, v122, s16 :: v_dual_cndmask_b32 v18, v18, v27, s14
	s_delay_alu instid0(VALU_DEP_2) | instskip(NEXT) | instid1(VALU_DEP_3)
	v_dual_cndmask_b32 v17, v16, v31, s15 :: v_dual_cndmask_b32 v47, v19, v26, s14
	v_cndmask_b32_e64 v16, v24, v30, s15
	s_delay_alu instid0(VALU_DEP_3) | instskip(SKIP_1) | instid1(VALU_DEP_4)
	v_dual_cndmask_b32 v24, v44, v42, s2 :: v_dual_cndmask_b32 v19, v18, v29, s15
	v_dual_cndmask_b32 v67, v45, v64, s2 :: v_dual_cndmask_b32 v70, v46, v142, s2
	v_cndmask_b32_e64 v18, v47, v28, s15
	s_delay_alu instid0(VALU_DEP_4) | instskip(NEXT) | instid1(VALU_DEP_2)
	v_mul_f64_e32 v[44:45], v[16:17], v[12:13]
	v_dual_mul_f64 v[46:47], v[18:19], v[12:13] :: v_dual_cndmask_b32 v16, v21, v126, s2
	v_dual_cndmask_b32 v17, v20, v125, s11 :: v_dual_cndmask_b32 v18, v25, v124, s11
	v_dual_cndmask_b32 v19, v24, v55, s3 :: v_dual_cndmask_b32 v21, v70, v141, s3
	s_delay_alu instid0(VALU_DEP_3) | instskip(NEXT) | instid1(VALU_DEP_3)
	v_dual_cndmask_b32 v20, v67, v58, s3 :: v_dual_cndmask_b32 v16, v16, v116, s3
	v_dual_cndmask_b32 v17, v17, v151, s12 :: v_dual_cndmask_b32 v18, v18, v148, s12
	s_delay_alu instid0(VALU_DEP_2) | instskip(NEXT) | instid1(VALU_DEP_4)
	v_dual_cndmask_b32 v19, v19, v53, s4 :: v_dual_cndmask_b32 v20, v20, v60, s4
	v_cndmask_b32_e64 v21, v21, v140, s4
	s_delay_alu instid0(VALU_DEP_3) | instskip(NEXT) | instid1(VALU_DEP_3)
	v_dual_cndmask_b32 v17, v17, v49, s13 :: v_dual_cndmask_b32 v18, v18, v48, s13
	v_dual_cndmask_b32 v16, v16, v112, s4 :: v_dual_cndmask_b32 v19, v19, v51, s5
	s_delay_alu instid0(VALU_DEP_2)
	v_dual_cndmask_b32 v20, v20, v62, s5 :: v_dual_cndmask_b32 v24, v17, v59, s14
	ds_load_b32 v67, v137
	v_dual_cndmask_b32 v18, v18, v147, s14 :: v_dual_cndmask_b32 v25, v16, v26, s5
	v_cndmask_b32_e64 v21, v21, v27, s5
	v_dual_cndmask_b32 v17, v19, v31, s6 :: v_dual_cndmask_b32 v19, v24, v57, s15
	v_cndmask_b32_e64 v16, v20, v30, s6
	s_delay_alu instid0(VALU_DEP_3) | instskip(SKIP_1) | instid1(VALU_DEP_2)
	v_dual_cndmask_b32 v18, v18, v146, s15 :: v_dual_cndmask_b32 v21, v21, v29, s6
	v_cndmask_b32_e64 v20, v25, v28, s6
	v_mul_f64_e32 v[70:71], v[18:19], v[12:13]
	s_delay_alu instid0(VALU_DEP_4) | instskip(NEXT) | instid1(VALU_DEP_3)
	v_fmac_f64_e32 v[44:45], v[16:17], v[14:15]
	v_fmac_f64_e32 v[46:47], v[20:21], v[14:15]
	s_wait_dscnt 0x0
	v_cmp_eq_u32_e32 vcc_lo, 8, v67
	v_mul_f64_e32 v[72:73], v[2:3], v[12:13]
	v_dual_cndmask_b32 v2, v22, v125, s2 :: v_dual_cndmask_b32 v3, v23, v124, s2
	v_cmp_eq_u32_e64 s2, 7, v67
	v_cmp_eq_u32_e64 s7, 2, v67
	;; [unrolled: 1-line block ×4, first 2 shown]
	v_dual_cndmask_b32 v2, v2, v151, s3 :: v_dual_cndmask_b32 v3, v3, v148, s3
	v_cmp_eq_u32_e64 s3, 6, v67
	s_delay_alu instid0(VALU_DEP_2) | instskip(SKIP_1) | instid1(VALU_DEP_2)
	v_dual_cndmask_b32 v2, v2, v49, s4 :: v_dual_cndmask_b32 v3, v3, v48, s4
	v_cmp_eq_u32_e64 s4, 5, v67
	v_dual_cndmask_b32 v2, v2, v59, s5 :: v_dual_cndmask_b32 v31, v31, v45, vcc_lo
	s_delay_alu instid0(VALU_DEP_1)
	v_dual_cndmask_b32 v12, v3, v147, s5 :: v_dual_cndmask_b32 v3, v2, v57, s6
	v_cndmask_b32_e32 v29, v29, v47, vcc_lo
	v_cmp_eq_u32_e64 s5, 4, v67
	v_dual_cndmask_b32 v28, v28, v46, vcc_lo :: v_dual_cndmask_b32 v51, v51, v45, s2
	v_dual_cndmask_b32 v27, v27, v47, s2 :: v_dual_cndmask_b32 v26, v26, v46, s2
	v_fmac_f64_e32 v[72:73], v[10:11], v[14:15]
	v_dual_cndmask_b32 v53, v53, v45, s3 :: v_dual_cndmask_b32 v25, v140, v47, s3
	v_dual_cndmask_b32 v24, v112, v46, s3 :: v_dual_cndmask_b32 v55, v55, v45, s4
	;; [unrolled: 1-line block ×8, first 2 shown]
	v_cndmask_b32_e64 v2, v12, v146, s6
	v_cmp_eq_u32_e64 s6, 3, v67
	v_cndmask_b32_e64 v129, v42, v45, s5
	v_cndmask_b32_e64 v21, v142, v47, s5
	;; [unrolled: 1-line block ×4, first 2 shown]
	v_fmac_f64_e32 v[70:71], v[2:3], v[14:15]
	v_lshl_add_u32 v2, v67, 2, v134
	v_cndmask_b32_e64 v127, v127, v45, s6
	v_dual_cndmask_b32 v19, v143, v47, s6 :: v_dual_cndmask_b32 v18, v128, v46, s6
	v_dual_cndmask_b32 v15, v145, v47, s8 :: v_dual_cndmask_b32 v14, v139, v46, s8
	v_cndmask_b32_e64 v128, v64, v44, s5
	v_dual_cndmask_b32 v126, v80, v44, s6 :: v_dual_cndmask_b32 v112, v81, v44, s7
	v_cndmask_b32_e64 v58, v58, v44, s4
	ds_load_b32 v2, v2
	v_dual_cndmask_b32 v133, v130, v73, s5 :: v_dual_cndmask_b32 v132, v68, v72, s5
	v_dual_cndmask_b32 v131, v131, v73, s6 :: v_dual_cndmask_b32 v3, v150, v73, s7
	v_cndmask_b32_e64 v130, v79, v72, s6
	v_dual_cndmask_b32 v119, v119, v73, s8 :: v_dual_cndmask_b32 v118, v118, v72, s8
	v_dual_cndmask_b32 v121, v121, v73, s9 :: v_dual_cndmask_b32 v120, v120, v72, s9
	v_dual_mov_b32 v68, v136 :: v_dual_cndmask_b32 v30, v30, v44, vcc_lo
	v_dual_cndmask_b32 v50, v50, v72, vcc_lo :: v_dual_cndmask_b32 v63, v63, v73, s2
	v_dual_cndmask_b32 v52, v52, v72, s2 :: v_dual_cndmask_b32 v47, v69, v73, s3
	v_dual_cndmask_b32 v54, v54, v72, s3 :: v_dual_cndmask_b32 v56, v56, v72, s4
	v_dual_cndmask_b32 v11, v78, v73, s4 :: v_dual_cndmask_b32 v61, v61, v73, vcc_lo
	s_wait_dscnt 0x0
	scratch_store_b32 off, v2, off offset:12
	v_dual_cndmask_b32 v125, v125, v71, s5 :: v_dual_cndmask_b32 v124, v124, v70, s5
	v_dual_cndmask_b32 v123, v123, v71, s6 :: v_dual_cndmask_b32 v122, v122, v70, s6
	;; [unrolled: 1-line block ×5, first 2 shown]
	s_wait_xcnt 0x0
	v_cndmask_b32_e64 v2, v149, v72, s7
	v_dual_cndmask_b32 v57, v57, v71 :: v_dual_cndmask_b32 v44, v146, v70
	v_cndmask_b32_e64 v59, v59, v71, s2
	v_dual_cndmask_b32 v46, v147, v70, s2 :: v_dual_cndmask_b32 v49, v49, v71, s3
	v_dual_cndmask_b32 v48, v48, v70, s3 :: v_dual_cndmask_b32 v45, v151, v71, s4
	v_cndmask_b32_e64 v10, v148, v70, s4
.LBB4_104:
	s_or_b32 exec_lo, exec_lo, s27
	scratch_store_b32 off, v66, off offset:8
	s_wait_xcnt 0x0
	s_and_saveexec_b32 s2, s0
	s_cbranch_execz .LBB4_113
; %bb.105:
	s_mov_b32 s3, 0
	s_branch .LBB4_107
.LBB4_106:                              ;   in Loop: Header=BB4_107 Depth=1
	s_wait_xcnt 0x0
	s_or_b32 exec_lo, exec_lo, s4
	s_wait_dscnt 0x0
	v_cmp_gt_i32_e32 vcc_lo, 0, v42
	v_mov_b32_e32 v135, v42
	s_or_b32 s3, vcc_lo, s3
	s_delay_alu instid0(SALU_CYCLE_1)
	s_and_not1_b32 exec_lo, exec_lo, s3
	s_cbranch_execz .LBB4_113
.LBB4_107:                              ; =>This Inner Loop Header: Depth=1
	s_delay_alu instid0(VALU_DEP_1) | instskip(SKIP_4) | instid1(VALU_DEP_2)
	v_cmp_eq_u32_e32 vcc_lo, 1, v135
	v_cmp_eq_u32_e64 s0, 2, v135
	s_mov_b32 s4, exec_lo
	v_dual_cndmask_b32 v42, v121, v119, vcc_lo :: v_dual_cndmask_b32 v64, v120, v118, vcc_lo
	v_cmp_eq_u32_e32 vcc_lo, 3, v135
	v_dual_cndmask_b32 v42, v42, v3, s0 :: v_dual_cndmask_b32 v64, v64, v2, s0
	s_mov_b32 s0, 0
	s_delay_alu instid0(VALU_DEP_1) | instskip(SKIP_1) | instid1(VALU_DEP_2)
	v_dual_cndmask_b32 v42, v42, v131, vcc_lo :: v_dual_cndmask_b32 v64, v64, v130, vcc_lo
	v_cmp_eq_u32_e32 vcc_lo, 4, v135
	v_dual_cndmask_b32 v42, v42, v133, vcc_lo :: v_dual_cndmask_b32 v64, v64, v132, vcc_lo
	v_cmp_eq_u32_e32 vcc_lo, 5, v135
	s_delay_alu instid0(VALU_DEP_2) | instskip(SKIP_1) | instid1(VALU_DEP_2)
	v_dual_cndmask_b32 v42, v42, v11, vcc_lo :: v_dual_cndmask_b32 v64, v64, v56, vcc_lo
	v_cmp_eq_u32_e32 vcc_lo, 6, v135
	v_dual_cndmask_b32 v42, v42, v47, vcc_lo :: v_dual_cndmask_b32 v64, v64, v54, vcc_lo
	v_cmp_eq_u32_e32 vcc_lo, 7, v135
	s_delay_alu instid0(VALU_DEP_2) | instskip(SKIP_1) | instid1(VALU_DEP_2)
	v_dual_cndmask_b32 v42, v42, v63, vcc_lo :: v_dual_cndmask_b32 v64, v64, v52, vcc_lo
	v_cmp_eq_u32_e32 vcc_lo, 8, v135
	v_dual_cndmask_b32 v71, v42, v61 :: v_dual_cndmask_b32 v70, v64, v50
	v_lshl_add_u32 v64, v135, 2, v134
	ds_load_b32 v42, v64
	v_cmpx_ngt_f64_e32 0, v[70:71]
	s_xor_b32 s4, exec_lo, s4
	s_cbranch_execnz .LBB4_110
; %bb.108:                              ;   in Loop: Header=BB4_107 Depth=1
	s_or_saveexec_b32 s4, s4
	v_mov_b32_e32 v66, 8
	s_xor_b32 exec_lo, exec_lo, s4
	s_cbranch_execnz .LBB4_111
.LBB4_109:                              ;   in Loop: Header=BB4_107 Depth=1
	s_or_b32 exec_lo, exec_lo, s4
	s_and_saveexec_b32 s4, s0
	s_cbranch_execz .LBB4_106
	s_branch .LBB4_112
.LBB4_110:                              ;   in Loop: Header=BB4_107 Depth=1
	scratch_load_b32 v64, off, off offset:8
	s_wait_loadcnt 0x0
	v_cmp_eq_u32_e32 vcc_lo, -1, v64
                                        ; implicit-def: $vgpr64
	s_and_b32 s0, vcc_lo, exec_lo
	s_wait_xcnt 0x0
	s_or_saveexec_b32 s4, s4
	v_mov_b32_e32 v66, 8
	s_xor_b32 exec_lo, exec_lo, s4
	s_cbranch_execz .LBB4_109
.LBB4_111:                              ;   in Loop: Header=BB4_107 Depth=1
	scratch_load_b32 v69, off, off offset:12
	v_mov_b32_e32 v66, 12
	s_or_b32 s0, s0, exec_lo
	s_wait_loadcnt 0x0
	ds_store_b32 v64, v69
	s_wait_xcnt 0x0
	s_or_b32 exec_lo, exec_lo, s4
	s_and_saveexec_b32 s4, s0
	s_cbranch_execz .LBB4_106
.LBB4_112:                              ;   in Loop: Header=BB4_107 Depth=1
	scratch_store_b32 v66, v135, off
	s_branch .LBB4_106
.LBB4_113:
	s_or_b32 exec_lo, exec_lo, s2
	s_and_saveexec_b32 s0, s1
	s_cbranch_execz .LBB4_115
; %bb.114:
	v_max_num_f64_e32 v[2:3], v[38:39], v[38:39]
	v_max_num_f64_e32 v[38:39], v[40:41], v[40:41]
	v_lshl_add_u32 v11, v43, 2, v134
	s_delay_alu instid0(VALU_DEP_2) | instskip(SKIP_1) | instid1(VALU_DEP_2)
	v_min_num_f64_e32 v[2:3], v[38:39], v[2:3]
	v_lshl_add_u32 v38, v68, 2, v134
	v_cmp_ngt_f64_e32 vcc_lo, 0, v[2:3]
	v_lshl_add_u32 v3, v67, 2, v134
	v_cndmask_b32_e32 v2, -1, v65, vcc_lo
	ds_store_b32 v11, v68
	ds_store_b32 v38, v67
	;; [unrolled: 1-line block ×3, first 2 shown]
.LBB4_115:
	s_or_b32 exec_lo, exec_lo, s0
	scratch_load_b32 v2, off, off offset:8
	s_mov_b32 s8, exec_lo
	s_wait_loadcnt 0x0
	v_cmpx_lt_i32_e32 -1, v2
	s_cbranch_execz .LBB4_119
; %bb.116:
	v_mov_b32_e32 v3, v2
	s_mov_b32 s9, 0
.LBB4_117:                              ; =>This Inner Loop Header: Depth=1
	s_delay_alu instid0(VALU_DEP_1)
	v_cmp_eq_u32_e32 vcc_lo, 1, v3
	v_cmp_eq_u32_e64 s0, 2, v3
	v_cmp_eq_u32_e64 s1, 3, v3
	;; [unrolled: 1-line block ×4, first 2 shown]
	v_dual_cndmask_b32 v11, v117, v115 :: v_dual_cndmask_b32 v38, v116, v114
	v_cmp_eq_u32_e64 s4, 6, v3
	v_cmp_eq_u32_e64 s5, 7, v3
	;; [unrolled: 1-line block ×3, first 2 shown]
	s_delay_alu instid0(VALU_DEP_4) | instskip(SKIP_2) | instid1(VALU_DEP_3)
	v_dual_cndmask_b32 v11, v11, v113, s0 :: v_dual_cndmask_b32 v38, v38, v112, s0
	v_cmp_eq_u32_e64 s7, 0, v3
	v_lshl_add_u32 v3, v3, 2, v134
	v_dual_cndmask_b32 v40, v12, v14, vcc_lo :: v_dual_cndmask_b32 v11, v11, v127, s1
	s_delay_alu instid0(VALU_DEP_4) | instskip(SKIP_2) | instid1(VALU_DEP_1)
	v_cndmask_b32_e64 v38, v38, v126, s1
	ds_load_b32 v3, v3
	v_dual_cndmask_b32 v40, v40, v16, s0 :: v_dual_cndmask_b32 v11, v11, v129, s2
	v_dual_cndmask_b32 v38, v38, v128, s2 :: v_dual_cndmask_b32 v40, v40, v18, s1
	s_delay_alu instid0(VALU_DEP_1) | instskip(NEXT) | instid1(VALU_DEP_1)
	v_dual_cndmask_b32 v11, v11, v55, s3 :: v_dual_cndmask_b32 v38, v38, v58, s3
	v_dual_cndmask_b32 v40, v40, v20, s2 :: v_dual_cndmask_b32 v11, v11, v53, s4
	s_delay_alu instid0(VALU_DEP_1) | instskip(NEXT) | instid1(VALU_DEP_1)
	v_dual_cndmask_b32 v38, v38, v60, s4 :: v_dual_cndmask_b32 v40, v40, v22, s3
	v_dual_cndmask_b32 v11, v11, v51, s5 :: v_dual_cndmask_b32 v38, v38, v62, s5
	s_delay_alu instid0(VALU_DEP_1) | instskip(NEXT) | instid1(VALU_DEP_2)
	v_dual_cndmask_b32 v40, v40, v24, s4 :: v_dual_cndmask_b32 v39, v11, v31, s6
	v_dual_cndmask_b32 v38, v38, v30, s6 :: v_dual_cndmask_b32 v11, v13, v15, vcc_lo
	s_delay_alu instid0(VALU_DEP_2) | instskip(NEXT) | instid1(VALU_DEP_2)
	v_cndmask_b32_e64 v40, v40, v26, s5
	v_add_f64_e64 v[38:39], -v[38:39], 1.0
	s_delay_alu instid0(VALU_DEP_2) | instskip(NEXT) | instid1(VALU_DEP_1)
	v_dual_cndmask_b32 v11, v11, v17, s0 :: v_dual_cndmask_b32 v40, v40, v28, s6
	v_cndmask_b32_e64 v11, v11, v19, s1
	s_delay_alu instid0(VALU_DEP_1) | instskip(NEXT) | instid1(VALU_DEP_1)
	v_cndmask_b32_e64 v11, v11, v21, s2
	v_cndmask_b32_e64 v11, v11, v23, s3
	s_delay_alu instid0(VALU_DEP_1) | instskip(NEXT) | instid1(VALU_DEP_1)
	v_cndmask_b32_e64 v11, v11, v25, s4
	;; [unrolled: 3-line block ×3, first 2 shown]
	v_add_f64_e64 v[38:39], v[38:39], -v[40:41]
	s_delay_alu instid0(VALU_DEP_1)
	v_dual_cndmask_b32 v109, v109, v39 :: v_dual_cndmask_b32 v108, v108, v38
	s_wait_dscnt 0x0
	v_cmp_gt_i32_e32 vcc_lo, 0, v3
	v_dual_cndmask_b32 v57, v57, v39, s6 :: v_dual_cndmask_b32 v44, v44, v38, s6
	v_dual_cndmask_b32 v59, v59, v39, s5 :: v_dual_cndmask_b32 v46, v46, v38, s5
	;; [unrolled: 1-line block ×8, first 2 shown]
	s_or_b32 s9, vcc_lo, s9
	s_delay_alu instid0(SALU_CYCLE_1)
	s_and_not1_b32 exec_lo, exec_lo, s9
	s_cbranch_execnz .LBB4_117
; %bb.118:
	s_or_b32 exec_lo, exec_lo, s9
.LBB4_119:
	s_delay_alu instid0(SALU_CYCLE_1) | instskip(NEXT) | instid1(SALU_CYCLE_1)
	s_or_b32 exec_lo, exec_lo, s8
	s_mov_b32 s7, exec_lo
	v_cmpx_lt_i32_e32 -1, v2
	s_cbranch_execz .LBB4_125
; %bb.120:
	v_lshl_add_u32 v3, v2, 2, v134
	s_mov_b32 s8, exec_lo
	ds_load_b32 v42, v3
	s_wait_dscnt 0x0
	v_lshl_add_u32 v3, v42, 2, v134
	ds_load_b32 v11, v3
	s_wait_dscnt 0x0
	v_cmpx_lt_i32_e32 -1, v11
	s_cbranch_execz .LBB4_124
; %bb.121:
	v_cmp_eq_u32_e32 vcc_lo, 1, v2
	v_cmp_eq_u32_e64 s0, 2, v2
	v_cmp_eq_u32_e64 s1, 3, v2
	;; [unrolled: 1-line block ×4, first 2 shown]
	v_dual_cndmask_b32 v38, v13, v15 :: v_dual_cndmask_b32 v39, v12, v14
	v_cmp_eq_u32_e64 s4, 6, v2
	v_cmp_eq_u32_e64 s5, 7, v2
	;; [unrolled: 1-line block ×3, first 2 shown]
	s_delay_alu instid0(VALU_DEP_4) | instskip(SKIP_2) | instid1(VALU_DEP_2)
	v_dual_cndmask_b32 v38, v38, v17, s0 :: v_dual_cndmask_b32 v39, v39, v16, s0
	v_dual_cndmask_b32 v3, v117, v115 :: v_dual_cndmask_b32 v2, v116, v114
	s_mov_b32 s9, 0
	v_dual_cndmask_b32 v38, v38, v19, s1 :: v_dual_cndmask_b32 v39, v39, v18, s1
	s_delay_alu instid0(VALU_DEP_2) | instskip(SKIP_1) | instid1(VALU_DEP_3)
	v_dual_cndmask_b32 v3, v3, v113, s0 :: v_dual_cndmask_b32 v2, v2, v112, s0
	v_cndmask_b32_e32 v41, v110, v108, vcc_lo
	v_dual_cndmask_b32 v38, v38, v21, s2 :: v_dual_cndmask_b32 v39, v39, v20, s2
	s_delay_alu instid0(VALU_DEP_3) | instskip(NEXT) | instid1(VALU_DEP_2)
	v_dual_cndmask_b32 v3, v3, v127, s1 :: v_dual_cndmask_b32 v2, v2, v126, s1
	v_dual_cndmask_b32 v41, v41, v106, s0 :: v_dual_cndmask_b32 v38, v38, v23, s3
	s_delay_alu instid0(VALU_DEP_3) | instskip(NEXT) | instid1(VALU_DEP_3)
	v_cndmask_b32_e64 v39, v39, v22, s3
	v_dual_cndmask_b32 v3, v3, v129, s2 :: v_dual_cndmask_b32 v2, v2, v128, s2
	s_delay_alu instid0(VALU_DEP_3) | instskip(NEXT) | instid1(VALU_DEP_3)
	v_dual_cndmask_b32 v41, v41, v122, s1 :: v_dual_cndmask_b32 v38, v38, v25, s4
	v_cndmask_b32_e64 v39, v39, v24, s4
	s_delay_alu instid0(VALU_DEP_3) | instskip(NEXT) | instid1(VALU_DEP_3)
	v_dual_cndmask_b32 v3, v3, v55, s3 :: v_dual_cndmask_b32 v2, v2, v58, s3
	v_dual_cndmask_b32 v41, v41, v124, s2 :: v_dual_cndmask_b32 v38, v38, v27, s5
	s_delay_alu instid0(VALU_DEP_3) | instskip(NEXT) | instid1(VALU_DEP_3)
	v_cndmask_b32_e64 v40, v39, v26, s5
	v_dual_cndmask_b32 v3, v3, v53, s4 :: v_dual_cndmask_b32 v2, v2, v60, s4
	s_delay_alu instid0(VALU_DEP_3) | instskip(NEXT) | instid1(VALU_DEP_3)
	v_dual_cndmask_b32 v41, v41, v10, s3 :: v_dual_cndmask_b32 v39, v38, v29, s6
	v_dual_cndmask_b32 v38, v40, v28, s6 :: v_dual_cndmask_b32 v40, v111, v109, vcc_lo
	v_cmp_eq_u32_e32 vcc_lo, 1, v42
	s_delay_alu instid0(VALU_DEP_4) | instskip(NEXT) | instid1(VALU_DEP_3)
	v_dual_cndmask_b32 v3, v3, v51, s5 :: v_dual_cndmask_b32 v2, v2, v62, s5
	v_dual_cndmask_b32 v41, v41, v48, s4 :: v_dual_cndmask_b32 v40, v40, v107, s0
	v_cmp_eq_u32_e64 s0, 2, v42
	v_dual_cndmask_b32 v47, v117, v115 :: v_dual_cndmask_b32 v50, v116, v114
	s_delay_alu instid0(VALU_DEP_4) | instskip(NEXT) | instid1(VALU_DEP_4)
	v_dual_cndmask_b32 v3, v3, v31, s6 :: v_dual_cndmask_b32 v2, v2, v30, s6
	v_cndmask_b32_e64 v40, v40, v123, s1
	v_cmp_eq_u32_e64 s1, 3, v42
	s_delay_alu instid0(VALU_DEP_4) | instskip(NEXT) | instid1(VALU_DEP_3)
	v_dual_cndmask_b32 v47, v47, v113, s0 :: v_dual_cndmask_b32 v50, v50, v112, s0
	v_dual_cndmask_b32 v43, v41, v46, s5 :: v_dual_cndmask_b32 v40, v40, v125, s2
	v_cmp_eq_u32_e64 s2, 4, v42
	s_delay_alu instid0(VALU_DEP_3) | instskip(NEXT) | instid1(VALU_DEP_3)
	v_dual_cndmask_b32 v47, v47, v127, s1 :: v_dual_cndmask_b32 v50, v50, v126, s1
	v_cndmask_b32_e64 v40, v40, v45, s3
	v_cmp_eq_u32_e64 s3, 5, v42
	s_delay_alu instid0(VALU_DEP_3) | instskip(NEXT) | instid1(VALU_DEP_3)
	v_dual_cndmask_b32 v47, v47, v129, s2 :: v_dual_cndmask_b32 v50, v50, v128, s2
	v_cndmask_b32_e64 v40, v40, v49, s4
	v_cmp_eq_u32_e64 s4, 6, v42
	s_delay_alu instid0(VALU_DEP_3) | instskip(NEXT) | instid1(VALU_DEP_3)
	v_dual_cndmask_b32 v47, v47, v55, s3 :: v_dual_cndmask_b32 v50, v50, v58, s3
	v_cndmask_b32_e64 v40, v40, v59, s5
	v_cmp_eq_u32_e64 s5, 7, v42
	s_delay_alu instid0(VALU_DEP_3) | instskip(NEXT) | instid1(VALU_DEP_3)
	v_dual_cndmask_b32 v47, v47, v53, s4 :: v_dual_cndmask_b32 v50, v50, v60, s4
	v_dual_cndmask_b32 v41, v40, v57, s6 :: v_dual_cndmask_b32 v40, v43, v44, s6
	v_cndmask_b32_e32 v43, v13, v15, vcc_lo
	v_cmp_eq_u32_e64 s6, 8, v42
	s_delay_alu instid0(VALU_DEP_4) | instskip(NEXT) | instid1(VALU_DEP_3)
	v_dual_cndmask_b32 v42, v12, v14, vcc_lo :: v_dual_cndmask_b32 v47, v47, v51, s5
	v_dual_cndmask_b32 v50, v50, v62, s5 :: v_dual_cndmask_b32 v43, v43, v17, s0
	v_mul_f64_e32 v[64:65], v[2:3], v[40:41]
	s_delay_alu instid0(VALU_DEP_3) | instskip(NEXT) | instid1(VALU_DEP_3)
	v_dual_cndmask_b32 v42, v42, v16, s0 :: v_dual_cndmask_b32 v71, v47, v31, s6
	v_dual_cndmask_b32 v70, v50, v30, s6 :: v_dual_cndmask_b32 v43, v43, v19, s1
	v_dual_cndmask_b32 v47, v111, v109 :: v_dual_cndmask_b32 v50, v110, v108
	s_delay_alu instid0(VALU_DEP_3) | instskip(NEXT) | instid1(VALU_DEP_3)
	v_cndmask_b32_e64 v42, v42, v18, s1
	v_add_f64_e64 v[74:75], v[70:71], -v[2:3]
	s_delay_alu instid0(VALU_DEP_4) | instskip(NEXT) | instid1(VALU_DEP_4)
	v_cndmask_b32_e64 v43, v43, v21, s2
	v_dual_cndmask_b32 v47, v47, v107, s0 :: v_dual_cndmask_b32 v50, v50, v106, s0
	s_delay_alu instid0(VALU_DEP_4) | instskip(SKIP_1) | instid1(VALU_DEP_4)
	v_cndmask_b32_e64 v42, v42, v20, s2
	v_mul_f64_e32 v[66:67], v[38:39], v[40:41]
	v_dual_mul_f64 v[68:69], v[40:41], v[40:41] :: v_dual_cndmask_b32 v43, v43, v23, s3
	s_delay_alu instid0(VALU_DEP_4) | instskip(NEXT) | instid1(VALU_DEP_2)
	v_dual_cndmask_b32 v47, v47, v123, s1 :: v_dual_cndmask_b32 v50, v50, v122, s1
	v_dual_cndmask_b32 v42, v42, v22, s3 :: v_dual_cndmask_b32 v43, v43, v25, s4
	s_delay_alu instid0(VALU_DEP_2) | instskip(NEXT) | instid1(VALU_DEP_2)
	v_dual_cndmask_b32 v47, v47, v125, s2 :: v_dual_cndmask_b32 v50, v50, v124, s2
	v_dual_cndmask_b32 v42, v42, v24, s4 :: v_dual_cndmask_b32 v43, v43, v27, s5
	s_delay_alu instid0(VALU_DEP_2) | instskip(NEXT) | instid1(VALU_DEP_2)
	v_dual_cndmask_b32 v47, v47, v45, s3 :: v_dual_cndmask_b32 v50, v50, v10, s3
	v_dual_cndmask_b32 v42, v42, v26, s5 :: v_dual_cndmask_b32 v43, v43, v29, s6
	s_delay_alu instid0(VALU_DEP_2) | instskip(NEXT) | instid1(VALU_DEP_1)
	v_dual_cndmask_b32 v47, v47, v49, s4 :: v_dual_cndmask_b32 v50, v50, v48, s4
	v_dual_cndmask_b32 v42, v42, v28, s6 :: v_dual_cndmask_b32 v47, v47, v59, s5
	s_delay_alu instid0(VALU_DEP_2) | instskip(NEXT) | instid1(VALU_DEP_2)
	v_cndmask_b32_e64 v50, v50, v46, s5
	v_add_f64_e64 v[76:77], v[42:43], -v[38:39]
	s_delay_alu instid0(VALU_DEP_2)
	v_dual_cndmask_b32 v73, v47, v57, s6 :: v_dual_cndmask_b32 v72, v50, v44, s6
.LBB4_122:                              ; =>This Inner Loop Header: Depth=1
	v_cmp_eq_u32_e32 vcc_lo, 1, v11
	v_cmp_eq_u32_e64 s0, 2, v11
	v_cmp_eq_u32_e64 s1, 3, v11
	;; [unrolled: 1-line block ×4, first 2 shown]
	v_dual_cndmask_b32 v47, v117, v115 :: v_dual_cndmask_b32 v50, v116, v114
	v_cmp_eq_u32_e64 s4, 6, v11
	v_cmp_eq_u32_e64 s5, 7, v11
	;; [unrolled: 1-line block ×3, first 2 shown]
	s_delay_alu instid0(VALU_DEP_4) | instskip(SKIP_3) | instid1(VALU_DEP_4)
	v_dual_cndmask_b32 v47, v47, v113, s0 :: v_dual_cndmask_b32 v50, v50, v112, s0
	v_fma_f64 v[132:133], v[72:73], v[72:73], v[68:69]
	v_add_f64_e32 v[136:137], v[40:41], v[72:73]
	v_lshl_add_u32 v11, v11, 2, v134
	v_dual_cndmask_b32 v47, v47, v127, s1 :: v_dual_cndmask_b32 v50, v50, v126, s1
	ds_load_b32 v11, v11
	v_dual_cndmask_b32 v47, v47, v129, s2 :: v_dual_cndmask_b32 v50, v50, v128, s2
	s_delay_alu instid0(VALU_DEP_1) | instskip(NEXT) | instid1(VALU_DEP_1)
	v_dual_cndmask_b32 v47, v47, v55, s3 :: v_dual_cndmask_b32 v50, v50, v58, s3
	v_dual_cndmask_b32 v47, v47, v53, s4 :: v_dual_cndmask_b32 v50, v50, v60, s4
	s_delay_alu instid0(VALU_DEP_1) | instskip(NEXT) | instid1(VALU_DEP_1)
	v_dual_cndmask_b32 v47, v47, v51, s5 :: v_dual_cndmask_b32 v50, v50, v62, s5
	v_dual_cndmask_b32 v79, v47, v31, s6 :: v_dual_cndmask_b32 v78, v50, v30, s6
	v_dual_cndmask_b32 v47, v13, v15 :: v_dual_cndmask_b32 v50, v12, v14
	s_delay_alu instid0(VALU_DEP_2) | instskip(NEXT) | instid1(VALU_DEP_2)
	v_add_f64_e64 v[118:119], v[78:79], -v[2:3]
	v_dual_cndmask_b32 v47, v47, v17, s0 :: v_dual_cndmask_b32 v50, v50, v16, s0
	s_delay_alu instid0(VALU_DEP_1) | instskip(NEXT) | instid1(VALU_DEP_1)
	v_dual_cndmask_b32 v47, v47, v19, s1 :: v_dual_cndmask_b32 v50, v50, v18, s1
	v_dual_cndmask_b32 v47, v47, v21, s2 :: v_dual_cndmask_b32 v50, v50, v20, s2
	s_delay_alu instid0(VALU_DEP_1) | instskip(NEXT) | instid1(VALU_DEP_1)
	v_dual_cndmask_b32 v47, v47, v23, s3 :: v_dual_cndmask_b32 v50, v50, v22, s3
	v_dual_cndmask_b32 v47, v47, v25, s4 :: v_dual_cndmask_b32 v50, v50, v24, s4
	s_delay_alu instid0(VALU_DEP_1) | instskip(NEXT) | instid1(VALU_DEP_1)
	v_dual_cndmask_b32 v47, v47, v27, s5 :: v_dual_cndmask_b32 v50, v50, v26, s5
	v_dual_cndmask_b32 v81, v47, v29, s6 :: v_dual_cndmask_b32 v80, v50, v28, s6
	v_mul_f64_e32 v[76:77], v[118:119], v[76:77]
	v_dual_cndmask_b32 v47, v111, v109 :: v_dual_cndmask_b32 v50, v110, v108
	s_wait_dscnt 0x0
	v_cmp_gt_i32_e32 vcc_lo, 0, v11
	v_add_f64_e64 v[120:121], v[80:81], -v[38:39]
	s_delay_alu instid0(VALU_DEP_3) | instskip(SKIP_1) | instid1(VALU_DEP_1)
	v_dual_cndmask_b32 v47, v47, v107, s0 :: v_dual_cndmask_b32 v50, v50, v106, s0
	s_or_b32 s9, vcc_lo, s9
	v_dual_cndmask_b32 v47, v47, v123, s1 :: v_dual_cndmask_b32 v50, v50, v122, s1
	s_delay_alu instid0(VALU_DEP_1) | instskip(NEXT) | instid1(VALU_DEP_1)
	v_dual_cndmask_b32 v47, v47, v125, s2 :: v_dual_cndmask_b32 v50, v50, v124, s2
	v_dual_cndmask_b32 v47, v47, v45, s3 :: v_dual_cndmask_b32 v50, v50, v10, s3
	s_delay_alu instid0(VALU_DEP_1) | instskip(NEXT) | instid1(VALU_DEP_1)
	v_dual_cndmask_b32 v47, v47, v49, s4 :: v_dual_cndmask_b32 v50, v50, v48, s4
	v_dual_cndmask_b32 v47, v47, v59, s5 :: v_dual_cndmask_b32 v50, v50, v46, s5
	s_delay_alu instid0(VALU_DEP_1) | instskip(NEXT) | instid1(VALU_DEP_2)
	v_dual_fma_f64 v[74:75], v[120:121], v[74:75], -v[76:77] :: v_dual_cndmask_b32 v131, v47, v57, s6
	v_cndmask_b32_e64 v130, v50, v44, s6
	v_add_f64_e32 v[76:77], v[2:3], v[70:71]
	v_fma_f64 v[70:71], v[70:71], v[72:73], v[64:65]
	s_delay_alu instid0(VALU_DEP_3) | instskip(SKIP_1) | instid1(VALU_DEP_4)
	v_fmac_f64_e32 v[132:133], v[130:131], v[130:131]
	v_add_f64_e32 v[136:137], v[130:131], v[136:137]
	v_add_f64_e32 v[76:77], v[76:77], v[78:79]
	s_delay_alu instid0(VALU_DEP_4) | instskip(NEXT) | instid1(VALU_DEP_4)
	v_fmac_f64_e32 v[70:71], v[130:131], v[78:79]
	v_fmac_f64_e32 v[132:133], v[40:41], v[72:73]
	s_delay_alu instid0(VALU_DEP_4) | instskip(SKIP_1) | instid1(VALU_DEP_3)
	v_mul_f64_e32 v[138:139], v[136:137], v[74:75]
	v_fmac_f64_e32 v[34:35], v[136:137], v[74:75]
	v_fmac_f64_e32 v[132:133], v[40:41], v[130:131]
	s_delay_alu instid0(VALU_DEP_3) | instskip(NEXT) | instid1(VALU_DEP_2)
	v_mul_f64_e32 v[76:77], v[76:77], v[138:139]
	v_fmac_f64_e32 v[132:133], v[130:131], v[72:73]
	v_fma_f64 v[72:73], v[42:43], v[72:73], v[66:67]
	v_add_f64_e32 v[42:43], v[38:39], v[42:43]
	s_delay_alu instid0(VALU_DEP_4)
	v_fmac_f64_e32 v[76:77], v[70:71], v[74:75]
	v_mov_b64_e32 v[70:71], v[78:79]
	v_fmac_f64_e32 v[0:1], v[74:75], v[132:133]
	v_fmac_f64_e32 v[72:73], v[80:81], v[130:131]
	v_add_f64_e32 v[42:43], v[80:81], v[42:43]
	v_add_f64_e32 v[36:37], v[36:37], v[76:77]
	v_mov_b64_e32 v[76:77], v[120:121]
	s_delay_alu instid0(VALU_DEP_3) | instskip(NEXT) | instid1(VALU_DEP_1)
	v_mul_f64_e32 v[42:43], v[42:43], v[138:139]
	v_fmac_f64_e32 v[42:43], v[72:73], v[74:75]
	v_mov_b64_e32 v[74:75], v[118:119]
	v_mov_b64_e32 v[72:73], v[130:131]
	s_delay_alu instid0(VALU_DEP_3)
	v_add_f64_e32 v[32:33], v[32:33], v[42:43]
	v_mov_b64_e32 v[42:43], v[80:81]
	s_and_not1_b32 exec_lo, exec_lo, s9
	s_cbranch_execnz .LBB4_122
; %bb.123:
	s_or_b32 exec_lo, exec_lo, s9
.LBB4_124:
	s_delay_alu instid0(SALU_CYCLE_1)
	s_or_b32 exec_lo, exec_lo, s8
.LBB4_125:
	s_delay_alu instid0(SALU_CYCLE_1) | instskip(SKIP_2) | instid1(VALU_DEP_4)
	s_or_b32 exec_lo, exec_lo, s7
	v_mul_f64_e32 v[2:3], 0x3fa5555555555555, v[36:37]
	v_mul_f64_e32 v[10:11], 0x3fc5555555555555, v[34:35]
	;; [unrolled: 1-line block ×4, first 2 shown]
	s_delay_alu instid0(VALU_DEP_4) | instskip(SKIP_3) | instid1(VALU_DEP_4)
	v_mul_f64_e32 v[12:13], v[100:101], v[2:3]
	v_mul_f64_e32 v[14:15], v[102:103], v[2:3]
	;; [unrolled: 1-line block ×3, first 2 shown]
	v_fma_f64 v[24:25], v[104:105], v[10:11], 0
	v_fmac_f64_e32 v[12:13], v[86:87], v[10:11]
	s_delay_alu instid0(VALU_DEP_4) | instskip(NEXT) | instid1(VALU_DEP_4)
	v_fmac_f64_e32 v[14:15], v[8:9], v[10:11]
	v_fmac_f64_e32 v[2:3], v[4:5], v[10:11]
	s_delay_alu instid0(VALU_DEP_3) | instskip(NEXT) | instid1(VALU_DEP_3)
	v_fmac_f64_e32 v[12:13], v[96:97], v[16:17]
	v_fmac_f64_e32 v[14:15], v[94:95], v[16:17]
	s_delay_alu instid0(VALU_DEP_3) | instskip(NEXT) | instid1(VALU_DEP_3)
	;; [unrolled: 3-line block ×4, first 2 shown]
	v_fma_f64 v[18:19], v[104:105], v[12:13], 0
	v_fma_f64 v[22:23], v[104:105], v[14:15], 0
	s_delay_alu instid0(VALU_DEP_3)
	v_fma_f64 v[20:21], v[104:105], v[2:3], 0
.LBB4_126:
	s_or_b32 exec_lo, exec_lo, s26
	v_mul_u64_e32 v[12:13], 0x48, v[84:85]
	v_and_b32_e32 v0, 0xffffffc0, v82
	v_mov_b32_e32 v1, v83
	v_mov_b64_e32 v[4:5], 0
	v_mov_b64_e32 v[2:3], v[24:25]
	;; [unrolled: 1-line block ×7, first 2 shown]
	v_cmp_gt_i64_e32 vcc_lo, v[12:13], v[0:1]
	v_mov_b64_e32 v[12:13], v[22:23]
	s_and_saveexec_b32 s0, vcc_lo
	s_cbranch_execz .LBB4_128
; %bb.127:
	v_mov_b64_e32 v[2:3], 0
	v_mov_b64_e32 v[6:7], 0
	;; [unrolled: 1-line block ×8, first 2 shown]
.LBB4_128:
	s_or_b32 exec_lo, exec_lo, s0
	v_mbcnt_lo_u32_b32 v18, -1, 0
	s_mov_b64 s[0:1], 1
	s_wait_storecnt_dscnt 0x0
	s_barrier_signal -1
	s_barrier_wait -1
.LBB4_129:                              ; =>This Inner Loop Header: Depth=1
	v_xor_b32_e32 v19, s0, v18
	v_cmp_gt_u64_e64 s2, s[0:1], 31
	s_lshl_b64 s[0:1], s[0:1], 1
	v_cmp_gt_i32_e32 vcc_lo, 32, v19
	v_cndmask_b32_e32 v19, v18, v19, vcc_lo
	s_and_b32 vcc_lo, exec_lo, s2
	s_delay_alu instid0(VALU_DEP_1)
	v_lshlrev_b32_e32 v19, 2, v19
	ds_bpermute_b32 v28, v19, v2
	ds_bpermute_b32 v29, v19, v3
	s_wait_dscnt 0x0
	v_add_f64_e32 v[2:3], v[2:3], v[28:29]
	ds_bpermute_b32 v20, v19, v16
	ds_bpermute_b32 v21, v19, v17
	;; [unrolled: 1-line block ×14, first 2 shown]
	s_wait_dscnt 0xc
	v_add_f64_e32 v[16:17], v[16:17], v[20:21]
	s_wait_dscnt 0xa
	v_add_f64_e32 v[10:11], v[10:11], v[22:23]
	;; [unrolled: 2-line block ×7, first 2 shown]
	s_cbranch_vccz .LBB4_129
; %bb.130:
	v_dual_mov_b32 v19, 0 :: v_dual_bitop2_b32 v18, 63, v82 bitop3:0x40
	s_mov_b32 s0, exec_lo
	s_delay_alu instid0(VALU_DEP_1)
	v_cmpx_eq_u64_e32 0, v[18:19]
	s_cbranch_execz .LBB4_132
; %bb.131:
	ds_store_2addr_b64 v19, v[2:3], v[6:7] offset1:2
	ds_store_2addr_b64 v19, v[12:13], v[14:15] offset0:4 offset1:6
	ds_store_2addr_b64 v19, v[16:17], v[10:11] offset0:8 offset1:10
	;; [unrolled: 1-line block ×3, first 2 shown]
.LBB4_132:
	s_or_b32 exec_lo, exec_lo, s0
	v_cmp_gt_u64_e32 vcc_lo, 8, v[18:19]
	s_wait_dscnt 0x0
	s_barrier_signal -1
	s_barrier_wait -1
	s_and_b32 exec_lo, exec_lo, vcc_lo
	s_cbranch_execz .LBB4_134
; %bb.133:
	v_dual_lshlrev_b32 v2, 4, v18 :: v_dual_lshlrev_b32 v4, 3, v18
	v_add_nc_u64_e32 v[0:1], s[28:29], v[0:1]
	v_mov_b32_e32 v5, 0
	ds_load_b64 v[2:3], v2
	v_add_nc_u64_e32 v[0:1], v[0:1], v[4:5]
	s_wait_dscnt 0x0
	global_store_b64 v[0:1], v[2:3], off
.LBB4_134:
	s_sendmsg sendmsg(MSG_DEALLOC_VGPRS)
	s_endpgm
	.section	.rodata,"a",@progbits
	.p2align	6, 0x0
	.amdhsa_kernel _ZN4RAJA6policy3hip4impl18forallp_hip_kernelINS1_8hip_execINS_17iteration_mapping6DirectENS_3hip11IndexGlobalILNS_9named_dimE0ELi64ELi0EEENS7_40AvoidDeviceMaxThreadOccupancyConcretizerINS7_34FractionOffsetOccupancyConcretizerINS_8FractionImLm1ELm1EEELln1EEEEELb1EEENS_9Iterators16numeric_iteratorIllPlEEZN8rajaperf4apps12INTSC_HEXHEX17runHipVariantImplILm64EEEvNSM_9VariantIDEEUllE1_lNS_4expt15ForallParamPackIJEEES6_SA_TnNSt9enable_ifIXaasr3std10is_base_ofINS5_10DirectBaseET4_EE5valuegtsrT5_10block_sizeLi0EEmE4typeELm64EEEvT1_T0_T2_T3_
		.amdhsa_group_segment_fixed_size 5248
		.amdhsa_private_segment_fixed_size 20
		.amdhsa_kernarg_size 52
		.amdhsa_user_sgpr_count 4
		.amdhsa_user_sgpr_dispatch_ptr 1
		.amdhsa_user_sgpr_queue_ptr 0
		.amdhsa_user_sgpr_kernarg_segment_ptr 1
		.amdhsa_user_sgpr_dispatch_id 0
		.amdhsa_user_sgpr_kernarg_preload_length 0
		.amdhsa_user_sgpr_kernarg_preload_offset 0
		.amdhsa_user_sgpr_private_segment_size 0
		.amdhsa_wavefront_size32 1
		.amdhsa_uses_dynamic_stack 0
		.amdhsa_enable_private_segment 1
		.amdhsa_system_sgpr_workgroup_id_x 1
		.amdhsa_system_sgpr_workgroup_id_y 0
		.amdhsa_system_sgpr_workgroup_id_z 0
		.amdhsa_system_sgpr_workgroup_info 0
		.amdhsa_system_vgpr_workitem_id 2
		.amdhsa_next_free_vgpr 156
		.amdhsa_next_free_sgpr 32
		.amdhsa_named_barrier_count 0
		.amdhsa_reserve_vcc 1
		.amdhsa_float_round_mode_32 0
		.amdhsa_float_round_mode_16_64 0
		.amdhsa_float_denorm_mode_32 3
		.amdhsa_float_denorm_mode_16_64 3
		.amdhsa_fp16_overflow 0
		.amdhsa_memory_ordered 1
		.amdhsa_forward_progress 1
		.amdhsa_inst_pref_size 255
		.amdhsa_round_robin_scheduling 0
		.amdhsa_exception_fp_ieee_invalid_op 0
		.amdhsa_exception_fp_denorm_src 0
		.amdhsa_exception_fp_ieee_div_zero 0
		.amdhsa_exception_fp_ieee_overflow 0
		.amdhsa_exception_fp_ieee_underflow 0
		.amdhsa_exception_fp_ieee_inexact 0
		.amdhsa_exception_int_div_zero 0
	.end_amdhsa_kernel
	.section	.text._ZN4RAJA6policy3hip4impl18forallp_hip_kernelINS1_8hip_execINS_17iteration_mapping6DirectENS_3hip11IndexGlobalILNS_9named_dimE0ELi64ELi0EEENS7_40AvoidDeviceMaxThreadOccupancyConcretizerINS7_34FractionOffsetOccupancyConcretizerINS_8FractionImLm1ELm1EEELln1EEEEELb1EEENS_9Iterators16numeric_iteratorIllPlEEZN8rajaperf4apps12INTSC_HEXHEX17runHipVariantImplILm64EEEvNSM_9VariantIDEEUllE1_lNS_4expt15ForallParamPackIJEEES6_SA_TnNSt9enable_ifIXaasr3std10is_base_ofINS5_10DirectBaseET4_EE5valuegtsrT5_10block_sizeLi0EEmE4typeELm64EEEvT1_T0_T2_T3_,"axG",@progbits,_ZN4RAJA6policy3hip4impl18forallp_hip_kernelINS1_8hip_execINS_17iteration_mapping6DirectENS_3hip11IndexGlobalILNS_9named_dimE0ELi64ELi0EEENS7_40AvoidDeviceMaxThreadOccupancyConcretizerINS7_34FractionOffsetOccupancyConcretizerINS_8FractionImLm1ELm1EEELln1EEEEELb1EEENS_9Iterators16numeric_iteratorIllPlEEZN8rajaperf4apps12INTSC_HEXHEX17runHipVariantImplILm64EEEvNSM_9VariantIDEEUllE1_lNS_4expt15ForallParamPackIJEEES6_SA_TnNSt9enable_ifIXaasr3std10is_base_ofINS5_10DirectBaseET4_EE5valuegtsrT5_10block_sizeLi0EEmE4typeELm64EEEvT1_T0_T2_T3_,comdat
.Lfunc_end4:
	.size	_ZN4RAJA6policy3hip4impl18forallp_hip_kernelINS1_8hip_execINS_17iteration_mapping6DirectENS_3hip11IndexGlobalILNS_9named_dimE0ELi64ELi0EEENS7_40AvoidDeviceMaxThreadOccupancyConcretizerINS7_34FractionOffsetOccupancyConcretizerINS_8FractionImLm1ELm1EEELln1EEEEELb1EEENS_9Iterators16numeric_iteratorIllPlEEZN8rajaperf4apps12INTSC_HEXHEX17runHipVariantImplILm64EEEvNSM_9VariantIDEEUllE1_lNS_4expt15ForallParamPackIJEEES6_SA_TnNSt9enable_ifIXaasr3std10is_base_ofINS5_10DirectBaseET4_EE5valuegtsrT5_10block_sizeLi0EEmE4typeELm64EEEvT1_T0_T2_T3_, .Lfunc_end4-_ZN4RAJA6policy3hip4impl18forallp_hip_kernelINS1_8hip_execINS_17iteration_mapping6DirectENS_3hip11IndexGlobalILNS_9named_dimE0ELi64ELi0EEENS7_40AvoidDeviceMaxThreadOccupancyConcretizerINS7_34FractionOffsetOccupancyConcretizerINS_8FractionImLm1ELm1EEELln1EEEEELb1EEENS_9Iterators16numeric_iteratorIllPlEEZN8rajaperf4apps12INTSC_HEXHEX17runHipVariantImplILm64EEEvNSM_9VariantIDEEUllE1_lNS_4expt15ForallParamPackIJEEES6_SA_TnNSt9enable_ifIXaasr3std10is_base_ofINS5_10DirectBaseET4_EE5valuegtsrT5_10block_sizeLi0EEmE4typeELm64EEEvT1_T0_T2_T3_
                                        ; -- End function
	.set _ZN4RAJA6policy3hip4impl18forallp_hip_kernelINS1_8hip_execINS_17iteration_mapping6DirectENS_3hip11IndexGlobalILNS_9named_dimE0ELi64ELi0EEENS7_40AvoidDeviceMaxThreadOccupancyConcretizerINS7_34FractionOffsetOccupancyConcretizerINS_8FractionImLm1ELm1EEELln1EEEEELb1EEENS_9Iterators16numeric_iteratorIllPlEEZN8rajaperf4apps12INTSC_HEXHEX17runHipVariantImplILm64EEEvNSM_9VariantIDEEUllE1_lNS_4expt15ForallParamPackIJEEES6_SA_TnNSt9enable_ifIXaasr3std10is_base_ofINS5_10DirectBaseET4_EE5valuegtsrT5_10block_sizeLi0EEmE4typeELm64EEEvT1_T0_T2_T3_.num_vgpr, 156
	.set _ZN4RAJA6policy3hip4impl18forallp_hip_kernelINS1_8hip_execINS_17iteration_mapping6DirectENS_3hip11IndexGlobalILNS_9named_dimE0ELi64ELi0EEENS7_40AvoidDeviceMaxThreadOccupancyConcretizerINS7_34FractionOffsetOccupancyConcretizerINS_8FractionImLm1ELm1EEELln1EEEEELb1EEENS_9Iterators16numeric_iteratorIllPlEEZN8rajaperf4apps12INTSC_HEXHEX17runHipVariantImplILm64EEEvNSM_9VariantIDEEUllE1_lNS_4expt15ForallParamPackIJEEES6_SA_TnNSt9enable_ifIXaasr3std10is_base_ofINS5_10DirectBaseET4_EE5valuegtsrT5_10block_sizeLi0EEmE4typeELm64EEEvT1_T0_T2_T3_.num_agpr, 0
	.set _ZN4RAJA6policy3hip4impl18forallp_hip_kernelINS1_8hip_execINS_17iteration_mapping6DirectENS_3hip11IndexGlobalILNS_9named_dimE0ELi64ELi0EEENS7_40AvoidDeviceMaxThreadOccupancyConcretizerINS7_34FractionOffsetOccupancyConcretizerINS_8FractionImLm1ELm1EEELln1EEEEELb1EEENS_9Iterators16numeric_iteratorIllPlEEZN8rajaperf4apps12INTSC_HEXHEX17runHipVariantImplILm64EEEvNSM_9VariantIDEEUllE1_lNS_4expt15ForallParamPackIJEEES6_SA_TnNSt9enable_ifIXaasr3std10is_base_ofINS5_10DirectBaseET4_EE5valuegtsrT5_10block_sizeLi0EEmE4typeELm64EEEvT1_T0_T2_T3_.numbered_sgpr, 32
	.set _ZN4RAJA6policy3hip4impl18forallp_hip_kernelINS1_8hip_execINS_17iteration_mapping6DirectENS_3hip11IndexGlobalILNS_9named_dimE0ELi64ELi0EEENS7_40AvoidDeviceMaxThreadOccupancyConcretizerINS7_34FractionOffsetOccupancyConcretizerINS_8FractionImLm1ELm1EEELln1EEEEELb1EEENS_9Iterators16numeric_iteratorIllPlEEZN8rajaperf4apps12INTSC_HEXHEX17runHipVariantImplILm64EEEvNSM_9VariantIDEEUllE1_lNS_4expt15ForallParamPackIJEEES6_SA_TnNSt9enable_ifIXaasr3std10is_base_ofINS5_10DirectBaseET4_EE5valuegtsrT5_10block_sizeLi0EEmE4typeELm64EEEvT1_T0_T2_T3_.num_named_barrier, 0
	.set _ZN4RAJA6policy3hip4impl18forallp_hip_kernelINS1_8hip_execINS_17iteration_mapping6DirectENS_3hip11IndexGlobalILNS_9named_dimE0ELi64ELi0EEENS7_40AvoidDeviceMaxThreadOccupancyConcretizerINS7_34FractionOffsetOccupancyConcretizerINS_8FractionImLm1ELm1EEELln1EEEEELb1EEENS_9Iterators16numeric_iteratorIllPlEEZN8rajaperf4apps12INTSC_HEXHEX17runHipVariantImplILm64EEEvNSM_9VariantIDEEUllE1_lNS_4expt15ForallParamPackIJEEES6_SA_TnNSt9enable_ifIXaasr3std10is_base_ofINS5_10DirectBaseET4_EE5valuegtsrT5_10block_sizeLi0EEmE4typeELm64EEEvT1_T0_T2_T3_.private_seg_size, 20
	.set _ZN4RAJA6policy3hip4impl18forallp_hip_kernelINS1_8hip_execINS_17iteration_mapping6DirectENS_3hip11IndexGlobalILNS_9named_dimE0ELi64ELi0EEENS7_40AvoidDeviceMaxThreadOccupancyConcretizerINS7_34FractionOffsetOccupancyConcretizerINS_8FractionImLm1ELm1EEELln1EEEEELb1EEENS_9Iterators16numeric_iteratorIllPlEEZN8rajaperf4apps12INTSC_HEXHEX17runHipVariantImplILm64EEEvNSM_9VariantIDEEUllE1_lNS_4expt15ForallParamPackIJEEES6_SA_TnNSt9enable_ifIXaasr3std10is_base_ofINS5_10DirectBaseET4_EE5valuegtsrT5_10block_sizeLi0EEmE4typeELm64EEEvT1_T0_T2_T3_.uses_vcc, 1
	.set _ZN4RAJA6policy3hip4impl18forallp_hip_kernelINS1_8hip_execINS_17iteration_mapping6DirectENS_3hip11IndexGlobalILNS_9named_dimE0ELi64ELi0EEENS7_40AvoidDeviceMaxThreadOccupancyConcretizerINS7_34FractionOffsetOccupancyConcretizerINS_8FractionImLm1ELm1EEELln1EEEEELb1EEENS_9Iterators16numeric_iteratorIllPlEEZN8rajaperf4apps12INTSC_HEXHEX17runHipVariantImplILm64EEEvNSM_9VariantIDEEUllE1_lNS_4expt15ForallParamPackIJEEES6_SA_TnNSt9enable_ifIXaasr3std10is_base_ofINS5_10DirectBaseET4_EE5valuegtsrT5_10block_sizeLi0EEmE4typeELm64EEEvT1_T0_T2_T3_.uses_flat_scratch, 1
	.set _ZN4RAJA6policy3hip4impl18forallp_hip_kernelINS1_8hip_execINS_17iteration_mapping6DirectENS_3hip11IndexGlobalILNS_9named_dimE0ELi64ELi0EEENS7_40AvoidDeviceMaxThreadOccupancyConcretizerINS7_34FractionOffsetOccupancyConcretizerINS_8FractionImLm1ELm1EEELln1EEEEELb1EEENS_9Iterators16numeric_iteratorIllPlEEZN8rajaperf4apps12INTSC_HEXHEX17runHipVariantImplILm64EEEvNSM_9VariantIDEEUllE1_lNS_4expt15ForallParamPackIJEEES6_SA_TnNSt9enable_ifIXaasr3std10is_base_ofINS5_10DirectBaseET4_EE5valuegtsrT5_10block_sizeLi0EEmE4typeELm64EEEvT1_T0_T2_T3_.has_dyn_sized_stack, 0
	.set _ZN4RAJA6policy3hip4impl18forallp_hip_kernelINS1_8hip_execINS_17iteration_mapping6DirectENS_3hip11IndexGlobalILNS_9named_dimE0ELi64ELi0EEENS7_40AvoidDeviceMaxThreadOccupancyConcretizerINS7_34FractionOffsetOccupancyConcretizerINS_8FractionImLm1ELm1EEELln1EEEEELb1EEENS_9Iterators16numeric_iteratorIllPlEEZN8rajaperf4apps12INTSC_HEXHEX17runHipVariantImplILm64EEEvNSM_9VariantIDEEUllE1_lNS_4expt15ForallParamPackIJEEES6_SA_TnNSt9enable_ifIXaasr3std10is_base_ofINS5_10DirectBaseET4_EE5valuegtsrT5_10block_sizeLi0EEmE4typeELm64EEEvT1_T0_T2_T3_.has_recursion, 0
	.set _ZN4RAJA6policy3hip4impl18forallp_hip_kernelINS1_8hip_execINS_17iteration_mapping6DirectENS_3hip11IndexGlobalILNS_9named_dimE0ELi64ELi0EEENS7_40AvoidDeviceMaxThreadOccupancyConcretizerINS7_34FractionOffsetOccupancyConcretizerINS_8FractionImLm1ELm1EEELln1EEEEELb1EEENS_9Iterators16numeric_iteratorIllPlEEZN8rajaperf4apps12INTSC_HEXHEX17runHipVariantImplILm64EEEvNSM_9VariantIDEEUllE1_lNS_4expt15ForallParamPackIJEEES6_SA_TnNSt9enable_ifIXaasr3std10is_base_ofINS5_10DirectBaseET4_EE5valuegtsrT5_10block_sizeLi0EEmE4typeELm64EEEvT1_T0_T2_T3_.has_indirect_call, 0
	.section	.AMDGPU.csdata,"",@progbits
; Kernel info:
; codeLenInByte = 33800
; TotalNumSgprs: 34
; NumVgprs: 156
; ScratchSize: 20
; MemoryBound: 0
; FloatMode: 240
; IeeeMode: 1
; LDSByteSize: 5248 bytes/workgroup (compile time only)
; SGPRBlocks: 0
; VGPRBlocks: 9
; NumSGPRsForWavesPerEU: 34
; NumVGPRsForWavesPerEU: 156
; NamedBarCnt: 0
; Occupancy: 6
; WaveLimiterHint : 0
; COMPUTE_PGM_RSRC2:SCRATCH_EN: 1
; COMPUTE_PGM_RSRC2:USER_SGPR: 4
; COMPUTE_PGM_RSRC2:TRAP_HANDLER: 0
; COMPUTE_PGM_RSRC2:TGID_X_EN: 1
; COMPUTE_PGM_RSRC2:TGID_Y_EN: 0
; COMPUTE_PGM_RSRC2:TGID_Z_EN: 0
; COMPUTE_PGM_RSRC2:TIDIG_COMP_CNT: 2
	.section	.text._ZN4RAJA6policy3hip4impl18forallp_hip_kernelINS1_8hip_execINS_17iteration_mapping6DirectENS_3hip11IndexGlobalILNS_9named_dimE0ELi64ELi0EEENS7_40AvoidDeviceMaxThreadOccupancyConcretizerINS7_34FractionOffsetOccupancyConcretizerINS_8FractionImLm1ELm1EEELln1EEEEELb1EEENS_9Iterators16numeric_iteratorIllPlEEZN8rajaperf4apps12INTSC_HEXHEX17runHipVariantImplILm64EEEvNSM_9VariantIDEEUllE2_lNS_4expt15ForallParamPackIJEEES6_SA_TnNSt9enable_ifIXaasr3std10is_base_ofINS5_10DirectBaseET4_EE5valuegtsrT5_10block_sizeLi0EEmE4typeELm64EEEvT1_T0_T2_T3_,"axG",@progbits,_ZN4RAJA6policy3hip4impl18forallp_hip_kernelINS1_8hip_execINS_17iteration_mapping6DirectENS_3hip11IndexGlobalILNS_9named_dimE0ELi64ELi0EEENS7_40AvoidDeviceMaxThreadOccupancyConcretizerINS7_34FractionOffsetOccupancyConcretizerINS_8FractionImLm1ELm1EEELln1EEEEELb1EEENS_9Iterators16numeric_iteratorIllPlEEZN8rajaperf4apps12INTSC_HEXHEX17runHipVariantImplILm64EEEvNSM_9VariantIDEEUllE2_lNS_4expt15ForallParamPackIJEEES6_SA_TnNSt9enable_ifIXaasr3std10is_base_ofINS5_10DirectBaseET4_EE5valuegtsrT5_10block_sizeLi0EEmE4typeELm64EEEvT1_T0_T2_T3_,comdat
	.protected	_ZN4RAJA6policy3hip4impl18forallp_hip_kernelINS1_8hip_execINS_17iteration_mapping6DirectENS_3hip11IndexGlobalILNS_9named_dimE0ELi64ELi0EEENS7_40AvoidDeviceMaxThreadOccupancyConcretizerINS7_34FractionOffsetOccupancyConcretizerINS_8FractionImLm1ELm1EEELln1EEEEELb1EEENS_9Iterators16numeric_iteratorIllPlEEZN8rajaperf4apps12INTSC_HEXHEX17runHipVariantImplILm64EEEvNSM_9VariantIDEEUllE2_lNS_4expt15ForallParamPackIJEEES6_SA_TnNSt9enable_ifIXaasr3std10is_base_ofINS5_10DirectBaseET4_EE5valuegtsrT5_10block_sizeLi0EEmE4typeELm64EEEvT1_T0_T2_T3_ ; -- Begin function _ZN4RAJA6policy3hip4impl18forallp_hip_kernelINS1_8hip_execINS_17iteration_mapping6DirectENS_3hip11IndexGlobalILNS_9named_dimE0ELi64ELi0EEENS7_40AvoidDeviceMaxThreadOccupancyConcretizerINS7_34FractionOffsetOccupancyConcretizerINS_8FractionImLm1ELm1EEELln1EEEEELb1EEENS_9Iterators16numeric_iteratorIllPlEEZN8rajaperf4apps12INTSC_HEXHEX17runHipVariantImplILm64EEEvNSM_9VariantIDEEUllE2_lNS_4expt15ForallParamPackIJEEES6_SA_TnNSt9enable_ifIXaasr3std10is_base_ofINS5_10DirectBaseET4_EE5valuegtsrT5_10block_sizeLi0EEmE4typeELm64EEEvT1_T0_T2_T3_
	.globl	_ZN4RAJA6policy3hip4impl18forallp_hip_kernelINS1_8hip_execINS_17iteration_mapping6DirectENS_3hip11IndexGlobalILNS_9named_dimE0ELi64ELi0EEENS7_40AvoidDeviceMaxThreadOccupancyConcretizerINS7_34FractionOffsetOccupancyConcretizerINS_8FractionImLm1ELm1EEELln1EEEEELb1EEENS_9Iterators16numeric_iteratorIllPlEEZN8rajaperf4apps12INTSC_HEXHEX17runHipVariantImplILm64EEEvNSM_9VariantIDEEUllE2_lNS_4expt15ForallParamPackIJEEES6_SA_TnNSt9enable_ifIXaasr3std10is_base_ofINS5_10DirectBaseET4_EE5valuegtsrT5_10block_sizeLi0EEmE4typeELm64EEEvT1_T0_T2_T3_
	.p2align	8
	.type	_ZN4RAJA6policy3hip4impl18forallp_hip_kernelINS1_8hip_execINS_17iteration_mapping6DirectENS_3hip11IndexGlobalILNS_9named_dimE0ELi64ELi0EEENS7_40AvoidDeviceMaxThreadOccupancyConcretizerINS7_34FractionOffsetOccupancyConcretizerINS_8FractionImLm1ELm1EEELln1EEEEELb1EEENS_9Iterators16numeric_iteratorIllPlEEZN8rajaperf4apps12INTSC_HEXHEX17runHipVariantImplILm64EEEvNSM_9VariantIDEEUllE2_lNS_4expt15ForallParamPackIJEEES6_SA_TnNSt9enable_ifIXaasr3std10is_base_ofINS5_10DirectBaseET4_EE5valuegtsrT5_10block_sizeLi0EEmE4typeELm64EEEvT1_T0_T2_T3_,@function
_ZN4RAJA6policy3hip4impl18forallp_hip_kernelINS1_8hip_execINS_17iteration_mapping6DirectENS_3hip11IndexGlobalILNS_9named_dimE0ELi64ELi0EEENS7_40AvoidDeviceMaxThreadOccupancyConcretizerINS7_34FractionOffsetOccupancyConcretizerINS_8FractionImLm1ELm1EEELln1EEEEELb1EEENS_9Iterators16numeric_iteratorIllPlEEZN8rajaperf4apps12INTSC_HEXHEX17runHipVariantImplILm64EEEvNSM_9VariantIDEEUllE2_lNS_4expt15ForallParamPackIJEEES6_SA_TnNSt9enable_ifIXaasr3std10is_base_ofINS5_10DirectBaseET4_EE5valuegtsrT5_10block_sizeLi0EEmE4typeELm64EEEvT1_T0_T2_T3_: ; @_ZN4RAJA6policy3hip4impl18forallp_hip_kernelINS1_8hip_execINS_17iteration_mapping6DirectENS_3hip11IndexGlobalILNS_9named_dimE0ELi64ELi0EEENS7_40AvoidDeviceMaxThreadOccupancyConcretizerINS7_34FractionOffsetOccupancyConcretizerINS_8FractionImLm1ELm1EEELln1EEEEELb1EEENS_9Iterators16numeric_iteratorIllPlEEZN8rajaperf4apps12INTSC_HEXHEX17runHipVariantImplILm64EEEvNSM_9VariantIDEEUllE2_lNS_4expt15ForallParamPackIJEEES6_SA_TnNSt9enable_ifIXaasr3std10is_base_ofINS5_10DirectBaseET4_EE5valuegtsrT5_10block_sizeLi0EEmE4typeELm64EEEvT1_T0_T2_T3_
; %bb.0:
	s_load_b64 s[2:3], s[0:1], 0x20
	s_bfe_u32 s4, ttmp6, 0x4000c
	s_and_b32 s5, ttmp6, 15
	s_add_co_i32 s4, s4, 1
	s_getreg_b32 s6, hwreg(HW_REG_IB_STS2, 6, 4)
	s_mul_i32 s4, ttmp9, s4
	s_delay_alu instid0(SALU_CYCLE_1) | instskip(SKIP_3) | instid1(SALU_CYCLE_1)
	s_add_co_i32 s4, s5, s4
	s_cmp_eq_u32 s6, 0
	s_mov_b32 s5, 0
	s_cselect_b32 s4, ttmp9, s4
	s_lshl_b64 s[4:5], s[4:5], 6
	s_delay_alu instid0(SALU_CYCLE_1) | instskip(SKIP_1) | instid1(VALU_DEP_1)
	v_dual_mov_b32 v1, s5 :: v_dual_bitop2_b32 v0, s4, v0 bitop3:0x54
	s_wait_kmcnt 0x0
	v_cmp_gt_i64_e32 vcc_lo, s[2:3], v[0:1]
	s_and_saveexec_b32 s2, vcc_lo
	s_cbranch_execz .LBB5_17
; %bb.1:
	s_load_b256 s[4:11], s[0:1], 0x0
	s_wait_xcnt 0x0
	s_mov_b32 s0, exec_lo
	s_wait_kmcnt 0x0
	v_add_nc_u64_e32 v[2:3], s[10:11], v[0:1]
	s_delay_alu instid0(VALU_DEP_1) | instskip(NEXT) | instid1(VALU_DEP_2)
	v_mad_nc_u64_u32 v[0:1], 0x240, v2, s[6:7]
	v_lshlrev_b64_e32 v[6:7], 8, v[2:3]
	v_lshlrev_b64_e32 v[4:5], 3, v[2:3]
	s_delay_alu instid0(VALU_DEP_3) | instskip(NEXT) | instid1(VALU_DEP_3)
	v_mad_u32 v1, 0x240, v3, v1
	v_add_nc_u64_e32 v[2:3], s[4:5], v[6:7]
	s_delay_alu instid0(VALU_DEP_3)
	v_cmpx_gt_u64_e64 s[8:9], v[4:5]
	s_cbranch_execz .LBB5_3
; %bb.2:
	s_clause 0x1
	global_load_b64 v[6:7], v[0:1], off
	global_load_b64 v[8:9], v[0:1], off offset:64
	s_wait_loadcnt 0x0
	v_add_f64_e32 v[6:7], v[6:7], v[8:9]
	global_store_b64 v[2:3], v[6:7], off
	s_clause 0x1
	global_load_b64 v[6:7], v[0:1], off offset:8
	global_load_b64 v[8:9], v[0:1], off offset:72
	s_wait_loadcnt 0x0
	v_add_f64_e32 v[6:7], v[6:7], v[8:9]
	global_store_b64 v[2:3], v[6:7], off offset:8
	s_clause 0x1
	global_load_b64 v[6:7], v[0:1], off offset:16
	global_load_b64 v[8:9], v[0:1], off offset:80
	s_wait_loadcnt 0x0
	v_add_f64_e32 v[6:7], v[6:7], v[8:9]
	global_store_b64 v[2:3], v[6:7], off offset:16
	;; [unrolled: 6-line block ×3, first 2 shown]
.LBB5_3:
	s_wait_xcnt 0x0
	s_or_b32 exec_lo, exec_lo, s0
	v_dual_mov_b32 v7, v5 :: v_dual_bitop2_b32 v6, 1, v4 bitop3:0x54
	s_mov_b32 s0, exec_lo
	s_delay_alu instid0(VALU_DEP_1)
	v_cmpx_gt_u64_e64 s[8:9], v[6:7]
	s_cbranch_execz .LBB5_5
; %bb.4:
	s_clause 0x1
	global_load_b64 v[6:7], v[0:1], off offset:96
	global_load_b64 v[8:9], v[0:1], off offset:128
	s_wait_loadcnt 0x0
	v_add_f64_e32 v[6:7], v[6:7], v[8:9]
	global_store_b64 v[2:3], v[6:7], off offset:32
	s_clause 0x1
	global_load_b64 v[6:7], v[0:1], off offset:104
	global_load_b64 v[8:9], v[0:1], off offset:136
	s_wait_loadcnt 0x0
	v_add_f64_e32 v[6:7], v[6:7], v[8:9]
	global_store_b64 v[2:3], v[6:7], off offset:40
	s_clause 0x1
	global_load_b64 v[6:7], v[0:1], off offset:112
	global_load_b64 v[8:9], v[0:1], off offset:144
	s_wait_loadcnt 0x0
	v_add_f64_e32 v[6:7], v[6:7], v[8:9]
	global_store_b64 v[2:3], v[6:7], off offset:48
	s_clause 0x1
	global_load_b64 v[6:7], v[0:1], off offset:120
	global_load_b64 v[8:9], v[0:1], off offset:152
	s_wait_loadcnt 0x0
	v_add_f64_e32 v[6:7], v[6:7], v[8:9]
	global_store_b64 v[2:3], v[6:7], off offset:56
.LBB5_5:
	s_wait_xcnt 0x0
	s_or_b32 exec_lo, exec_lo, s0
	v_dual_mov_b32 v7, v5 :: v_dual_bitop2_b32 v6, 2, v4 bitop3:0x54
	s_mov_b32 s0, exec_lo
	s_delay_alu instid0(VALU_DEP_1)
	v_cmpx_gt_u64_e64 s[8:9], v[6:7]
	s_cbranch_execz .LBB5_7
; %bb.6:
	s_clause 0x1
	global_load_b64 v[6:7], v[0:1], off offset:160
	global_load_b64 v[8:9], v[0:1], off offset:192
	s_wait_loadcnt 0x0
	v_add_f64_e32 v[6:7], v[6:7], v[8:9]
	global_store_b64 v[2:3], v[6:7], off offset:64
	s_clause 0x1
	global_load_b64 v[6:7], v[0:1], off offset:168
	global_load_b64 v[8:9], v[0:1], off offset:200
	s_wait_loadcnt 0x0
	v_add_f64_e32 v[6:7], v[6:7], v[8:9]
	global_store_b64 v[2:3], v[6:7], off offset:72
	s_clause 0x1
	global_load_b64 v[6:7], v[0:1], off offset:176
	global_load_b64 v[8:9], v[0:1], off offset:208
	s_wait_loadcnt 0x0
	v_add_f64_e32 v[6:7], v[6:7], v[8:9]
	global_store_b64 v[2:3], v[6:7], off offset:80
	s_clause 0x1
	global_load_b64 v[6:7], v[0:1], off offset:184
	global_load_b64 v[8:9], v[0:1], off offset:216
	s_wait_loadcnt 0x0
	v_add_f64_e32 v[6:7], v[6:7], v[8:9]
	global_store_b64 v[2:3], v[6:7], off offset:88
.LBB5_7:
	;; [unrolled: 33-line block ×6, first 2 shown]
	s_wait_xcnt 0x0
	s_or_b32 exec_lo, exec_lo, s0
	v_or_b32_e32 v4, 7, v4
	s_delay_alu instid0(VALU_DEP_1)
	v_cmp_gt_u64_e32 vcc_lo, s[8:9], v[4:5]
	s_and_b32 exec_lo, exec_lo, vcc_lo
	s_cbranch_execz .LBB5_17
; %bb.16:
	s_clause 0x1
	global_load_b64 v[4:5], v[0:1], off offset:480
	global_load_b64 v[6:7], v[0:1], off offset:512
	s_wait_loadcnt 0x0
	v_add_f64_e32 v[4:5], v[4:5], v[6:7]
	global_store_b64 v[2:3], v[4:5], off offset:224
	s_clause 0x1
	global_load_b64 v[4:5], v[0:1], off offset:488
	global_load_b64 v[6:7], v[0:1], off offset:520
	s_wait_loadcnt 0x0
	v_add_f64_e32 v[4:5], v[4:5], v[6:7]
	global_store_b64 v[2:3], v[4:5], off offset:232
	s_clause 0x1
	global_load_b64 v[4:5], v[0:1], off offset:496
	global_load_b64 v[6:7], v[0:1], off offset:528
	s_wait_loadcnt 0x0
	v_add_f64_e32 v[4:5], v[4:5], v[6:7]
	global_store_b64 v[2:3], v[4:5], off offset:240
	s_clause 0x1
	global_load_b64 v[4:5], v[0:1], off offset:504
	global_load_b64 v[6:7], v[0:1], off offset:536
	s_wait_loadcnt 0x0
	v_add_f64_e32 v[0:1], v[4:5], v[6:7]
	global_store_b64 v[2:3], v[0:1], off offset:248
.LBB5_17:
	s_endpgm
	.section	.rodata,"a",@progbits
	.p2align	6, 0x0
	.amdhsa_kernel _ZN4RAJA6policy3hip4impl18forallp_hip_kernelINS1_8hip_execINS_17iteration_mapping6DirectENS_3hip11IndexGlobalILNS_9named_dimE0ELi64ELi0EEENS7_40AvoidDeviceMaxThreadOccupancyConcretizerINS7_34FractionOffsetOccupancyConcretizerINS_8FractionImLm1ELm1EEELln1EEEEELb1EEENS_9Iterators16numeric_iteratorIllPlEEZN8rajaperf4apps12INTSC_HEXHEX17runHipVariantImplILm64EEEvNSM_9VariantIDEEUllE2_lNS_4expt15ForallParamPackIJEEES6_SA_TnNSt9enable_ifIXaasr3std10is_base_ofINS5_10DirectBaseET4_EE5valuegtsrT5_10block_sizeLi0EEmE4typeELm64EEEvT1_T0_T2_T3_
		.amdhsa_group_segment_fixed_size 0
		.amdhsa_private_segment_fixed_size 0
		.amdhsa_kernarg_size 44
		.amdhsa_user_sgpr_count 2
		.amdhsa_user_sgpr_dispatch_ptr 0
		.amdhsa_user_sgpr_queue_ptr 0
		.amdhsa_user_sgpr_kernarg_segment_ptr 1
		.amdhsa_user_sgpr_dispatch_id 0
		.amdhsa_user_sgpr_kernarg_preload_length 0
		.amdhsa_user_sgpr_kernarg_preload_offset 0
		.amdhsa_user_sgpr_private_segment_size 0
		.amdhsa_wavefront_size32 1
		.amdhsa_uses_dynamic_stack 0
		.amdhsa_enable_private_segment 0
		.amdhsa_system_sgpr_workgroup_id_x 1
		.amdhsa_system_sgpr_workgroup_id_y 0
		.amdhsa_system_sgpr_workgroup_id_z 0
		.amdhsa_system_sgpr_workgroup_info 0
		.amdhsa_system_vgpr_workitem_id 0
		.amdhsa_next_free_vgpr 10
		.amdhsa_next_free_sgpr 12
		.amdhsa_named_barrier_count 0
		.amdhsa_reserve_vcc 1
		.amdhsa_float_round_mode_32 0
		.amdhsa_float_round_mode_16_64 0
		.amdhsa_float_denorm_mode_32 3
		.amdhsa_float_denorm_mode_16_64 3
		.amdhsa_fp16_overflow 0
		.amdhsa_memory_ordered 1
		.amdhsa_forward_progress 1
		.amdhsa_inst_pref_size 16
		.amdhsa_round_robin_scheduling 0
		.amdhsa_exception_fp_ieee_invalid_op 0
		.amdhsa_exception_fp_denorm_src 0
		.amdhsa_exception_fp_ieee_div_zero 0
		.amdhsa_exception_fp_ieee_overflow 0
		.amdhsa_exception_fp_ieee_underflow 0
		.amdhsa_exception_fp_ieee_inexact 0
		.amdhsa_exception_int_div_zero 0
	.end_amdhsa_kernel
	.section	.text._ZN4RAJA6policy3hip4impl18forallp_hip_kernelINS1_8hip_execINS_17iteration_mapping6DirectENS_3hip11IndexGlobalILNS_9named_dimE0ELi64ELi0EEENS7_40AvoidDeviceMaxThreadOccupancyConcretizerINS7_34FractionOffsetOccupancyConcretizerINS_8FractionImLm1ELm1EEELln1EEEEELb1EEENS_9Iterators16numeric_iteratorIllPlEEZN8rajaperf4apps12INTSC_HEXHEX17runHipVariantImplILm64EEEvNSM_9VariantIDEEUllE2_lNS_4expt15ForallParamPackIJEEES6_SA_TnNSt9enable_ifIXaasr3std10is_base_ofINS5_10DirectBaseET4_EE5valuegtsrT5_10block_sizeLi0EEmE4typeELm64EEEvT1_T0_T2_T3_,"axG",@progbits,_ZN4RAJA6policy3hip4impl18forallp_hip_kernelINS1_8hip_execINS_17iteration_mapping6DirectENS_3hip11IndexGlobalILNS_9named_dimE0ELi64ELi0EEENS7_40AvoidDeviceMaxThreadOccupancyConcretizerINS7_34FractionOffsetOccupancyConcretizerINS_8FractionImLm1ELm1EEELln1EEEEELb1EEENS_9Iterators16numeric_iteratorIllPlEEZN8rajaperf4apps12INTSC_HEXHEX17runHipVariantImplILm64EEEvNSM_9VariantIDEEUllE2_lNS_4expt15ForallParamPackIJEEES6_SA_TnNSt9enable_ifIXaasr3std10is_base_ofINS5_10DirectBaseET4_EE5valuegtsrT5_10block_sizeLi0EEmE4typeELm64EEEvT1_T0_T2_T3_,comdat
.Lfunc_end5:
	.size	_ZN4RAJA6policy3hip4impl18forallp_hip_kernelINS1_8hip_execINS_17iteration_mapping6DirectENS_3hip11IndexGlobalILNS_9named_dimE0ELi64ELi0EEENS7_40AvoidDeviceMaxThreadOccupancyConcretizerINS7_34FractionOffsetOccupancyConcretizerINS_8FractionImLm1ELm1EEELln1EEEEELb1EEENS_9Iterators16numeric_iteratorIllPlEEZN8rajaperf4apps12INTSC_HEXHEX17runHipVariantImplILm64EEEvNSM_9VariantIDEEUllE2_lNS_4expt15ForallParamPackIJEEES6_SA_TnNSt9enable_ifIXaasr3std10is_base_ofINS5_10DirectBaseET4_EE5valuegtsrT5_10block_sizeLi0EEmE4typeELm64EEEvT1_T0_T2_T3_, .Lfunc_end5-_ZN4RAJA6policy3hip4impl18forallp_hip_kernelINS1_8hip_execINS_17iteration_mapping6DirectENS_3hip11IndexGlobalILNS_9named_dimE0ELi64ELi0EEENS7_40AvoidDeviceMaxThreadOccupancyConcretizerINS7_34FractionOffsetOccupancyConcretizerINS_8FractionImLm1ELm1EEELln1EEEEELb1EEENS_9Iterators16numeric_iteratorIllPlEEZN8rajaperf4apps12INTSC_HEXHEX17runHipVariantImplILm64EEEvNSM_9VariantIDEEUllE2_lNS_4expt15ForallParamPackIJEEES6_SA_TnNSt9enable_ifIXaasr3std10is_base_ofINS5_10DirectBaseET4_EE5valuegtsrT5_10block_sizeLi0EEmE4typeELm64EEEvT1_T0_T2_T3_
                                        ; -- End function
	.set _ZN4RAJA6policy3hip4impl18forallp_hip_kernelINS1_8hip_execINS_17iteration_mapping6DirectENS_3hip11IndexGlobalILNS_9named_dimE0ELi64ELi0EEENS7_40AvoidDeviceMaxThreadOccupancyConcretizerINS7_34FractionOffsetOccupancyConcretizerINS_8FractionImLm1ELm1EEELln1EEEEELb1EEENS_9Iterators16numeric_iteratorIllPlEEZN8rajaperf4apps12INTSC_HEXHEX17runHipVariantImplILm64EEEvNSM_9VariantIDEEUllE2_lNS_4expt15ForallParamPackIJEEES6_SA_TnNSt9enable_ifIXaasr3std10is_base_ofINS5_10DirectBaseET4_EE5valuegtsrT5_10block_sizeLi0EEmE4typeELm64EEEvT1_T0_T2_T3_.num_vgpr, 10
	.set _ZN4RAJA6policy3hip4impl18forallp_hip_kernelINS1_8hip_execINS_17iteration_mapping6DirectENS_3hip11IndexGlobalILNS_9named_dimE0ELi64ELi0EEENS7_40AvoidDeviceMaxThreadOccupancyConcretizerINS7_34FractionOffsetOccupancyConcretizerINS_8FractionImLm1ELm1EEELln1EEEEELb1EEENS_9Iterators16numeric_iteratorIllPlEEZN8rajaperf4apps12INTSC_HEXHEX17runHipVariantImplILm64EEEvNSM_9VariantIDEEUllE2_lNS_4expt15ForallParamPackIJEEES6_SA_TnNSt9enable_ifIXaasr3std10is_base_ofINS5_10DirectBaseET4_EE5valuegtsrT5_10block_sizeLi0EEmE4typeELm64EEEvT1_T0_T2_T3_.num_agpr, 0
	.set _ZN4RAJA6policy3hip4impl18forallp_hip_kernelINS1_8hip_execINS_17iteration_mapping6DirectENS_3hip11IndexGlobalILNS_9named_dimE0ELi64ELi0EEENS7_40AvoidDeviceMaxThreadOccupancyConcretizerINS7_34FractionOffsetOccupancyConcretizerINS_8FractionImLm1ELm1EEELln1EEEEELb1EEENS_9Iterators16numeric_iteratorIllPlEEZN8rajaperf4apps12INTSC_HEXHEX17runHipVariantImplILm64EEEvNSM_9VariantIDEEUllE2_lNS_4expt15ForallParamPackIJEEES6_SA_TnNSt9enable_ifIXaasr3std10is_base_ofINS5_10DirectBaseET4_EE5valuegtsrT5_10block_sizeLi0EEmE4typeELm64EEEvT1_T0_T2_T3_.numbered_sgpr, 12
	.set _ZN4RAJA6policy3hip4impl18forallp_hip_kernelINS1_8hip_execINS_17iteration_mapping6DirectENS_3hip11IndexGlobalILNS_9named_dimE0ELi64ELi0EEENS7_40AvoidDeviceMaxThreadOccupancyConcretizerINS7_34FractionOffsetOccupancyConcretizerINS_8FractionImLm1ELm1EEELln1EEEEELb1EEENS_9Iterators16numeric_iteratorIllPlEEZN8rajaperf4apps12INTSC_HEXHEX17runHipVariantImplILm64EEEvNSM_9VariantIDEEUllE2_lNS_4expt15ForallParamPackIJEEES6_SA_TnNSt9enable_ifIXaasr3std10is_base_ofINS5_10DirectBaseET4_EE5valuegtsrT5_10block_sizeLi0EEmE4typeELm64EEEvT1_T0_T2_T3_.num_named_barrier, 0
	.set _ZN4RAJA6policy3hip4impl18forallp_hip_kernelINS1_8hip_execINS_17iteration_mapping6DirectENS_3hip11IndexGlobalILNS_9named_dimE0ELi64ELi0EEENS7_40AvoidDeviceMaxThreadOccupancyConcretizerINS7_34FractionOffsetOccupancyConcretizerINS_8FractionImLm1ELm1EEELln1EEEEELb1EEENS_9Iterators16numeric_iteratorIllPlEEZN8rajaperf4apps12INTSC_HEXHEX17runHipVariantImplILm64EEEvNSM_9VariantIDEEUllE2_lNS_4expt15ForallParamPackIJEEES6_SA_TnNSt9enable_ifIXaasr3std10is_base_ofINS5_10DirectBaseET4_EE5valuegtsrT5_10block_sizeLi0EEmE4typeELm64EEEvT1_T0_T2_T3_.private_seg_size, 0
	.set _ZN4RAJA6policy3hip4impl18forallp_hip_kernelINS1_8hip_execINS_17iteration_mapping6DirectENS_3hip11IndexGlobalILNS_9named_dimE0ELi64ELi0EEENS7_40AvoidDeviceMaxThreadOccupancyConcretizerINS7_34FractionOffsetOccupancyConcretizerINS_8FractionImLm1ELm1EEELln1EEEEELb1EEENS_9Iterators16numeric_iteratorIllPlEEZN8rajaperf4apps12INTSC_HEXHEX17runHipVariantImplILm64EEEvNSM_9VariantIDEEUllE2_lNS_4expt15ForallParamPackIJEEES6_SA_TnNSt9enable_ifIXaasr3std10is_base_ofINS5_10DirectBaseET4_EE5valuegtsrT5_10block_sizeLi0EEmE4typeELm64EEEvT1_T0_T2_T3_.uses_vcc, 1
	.set _ZN4RAJA6policy3hip4impl18forallp_hip_kernelINS1_8hip_execINS_17iteration_mapping6DirectENS_3hip11IndexGlobalILNS_9named_dimE0ELi64ELi0EEENS7_40AvoidDeviceMaxThreadOccupancyConcretizerINS7_34FractionOffsetOccupancyConcretizerINS_8FractionImLm1ELm1EEELln1EEEEELb1EEENS_9Iterators16numeric_iteratorIllPlEEZN8rajaperf4apps12INTSC_HEXHEX17runHipVariantImplILm64EEEvNSM_9VariantIDEEUllE2_lNS_4expt15ForallParamPackIJEEES6_SA_TnNSt9enable_ifIXaasr3std10is_base_ofINS5_10DirectBaseET4_EE5valuegtsrT5_10block_sizeLi0EEmE4typeELm64EEEvT1_T0_T2_T3_.uses_flat_scratch, 0
	.set _ZN4RAJA6policy3hip4impl18forallp_hip_kernelINS1_8hip_execINS_17iteration_mapping6DirectENS_3hip11IndexGlobalILNS_9named_dimE0ELi64ELi0EEENS7_40AvoidDeviceMaxThreadOccupancyConcretizerINS7_34FractionOffsetOccupancyConcretizerINS_8FractionImLm1ELm1EEELln1EEEEELb1EEENS_9Iterators16numeric_iteratorIllPlEEZN8rajaperf4apps12INTSC_HEXHEX17runHipVariantImplILm64EEEvNSM_9VariantIDEEUllE2_lNS_4expt15ForallParamPackIJEEES6_SA_TnNSt9enable_ifIXaasr3std10is_base_ofINS5_10DirectBaseET4_EE5valuegtsrT5_10block_sizeLi0EEmE4typeELm64EEEvT1_T0_T2_T3_.has_dyn_sized_stack, 0
	.set _ZN4RAJA6policy3hip4impl18forallp_hip_kernelINS1_8hip_execINS_17iteration_mapping6DirectENS_3hip11IndexGlobalILNS_9named_dimE0ELi64ELi0EEENS7_40AvoidDeviceMaxThreadOccupancyConcretizerINS7_34FractionOffsetOccupancyConcretizerINS_8FractionImLm1ELm1EEELln1EEEEELb1EEENS_9Iterators16numeric_iteratorIllPlEEZN8rajaperf4apps12INTSC_HEXHEX17runHipVariantImplILm64EEEvNSM_9VariantIDEEUllE2_lNS_4expt15ForallParamPackIJEEES6_SA_TnNSt9enable_ifIXaasr3std10is_base_ofINS5_10DirectBaseET4_EE5valuegtsrT5_10block_sizeLi0EEmE4typeELm64EEEvT1_T0_T2_T3_.has_recursion, 0
	.set _ZN4RAJA6policy3hip4impl18forallp_hip_kernelINS1_8hip_execINS_17iteration_mapping6DirectENS_3hip11IndexGlobalILNS_9named_dimE0ELi64ELi0EEENS7_40AvoidDeviceMaxThreadOccupancyConcretizerINS7_34FractionOffsetOccupancyConcretizerINS_8FractionImLm1ELm1EEELln1EEEEELb1EEENS_9Iterators16numeric_iteratorIllPlEEZN8rajaperf4apps12INTSC_HEXHEX17runHipVariantImplILm64EEEvNSM_9VariantIDEEUllE2_lNS_4expt15ForallParamPackIJEEES6_SA_TnNSt9enable_ifIXaasr3std10is_base_ofINS5_10DirectBaseET4_EE5valuegtsrT5_10block_sizeLi0EEmE4typeELm64EEEvT1_T0_T2_T3_.has_indirect_call, 0
	.section	.AMDGPU.csdata,"",@progbits
; Kernel info:
; codeLenInByte = 1980
; TotalNumSgprs: 14
; NumVgprs: 10
; ScratchSize: 0
; MemoryBound: 1
; FloatMode: 240
; IeeeMode: 1
; LDSByteSize: 0 bytes/workgroup (compile time only)
; SGPRBlocks: 0
; VGPRBlocks: 0
; NumSGPRsForWavesPerEU: 14
; NumVGPRsForWavesPerEU: 10
; NamedBarCnt: 0
; Occupancy: 16
; WaveLimiterHint : 1
; COMPUTE_PGM_RSRC2:SCRATCH_EN: 0
; COMPUTE_PGM_RSRC2:USER_SGPR: 2
; COMPUTE_PGM_RSRC2:TRAP_HANDLER: 0
; COMPUTE_PGM_RSRC2:TGID_X_EN: 1
; COMPUTE_PGM_RSRC2:TGID_Y_EN: 0
; COMPUTE_PGM_RSRC2:TGID_Z_EN: 0
; COMPUTE_PGM_RSRC2:TIDIG_COMP_CNT: 0
	.section	.AMDGPU.gpr_maximums,"",@progbits
	.set amdgpu.max_num_vgpr, 0
	.set amdgpu.max_num_agpr, 0
	.set amdgpu.max_num_sgpr, 0
	.section	.AMDGPU.csdata,"",@progbits
	.type	__const._ZN8rajaperf14hex_intsc_subzEPKdS1_iiRdS2_S2_S2_.cyc_nod,@object ; @__const._ZN8rajaperf14hex_intsc_subzEPKdS1_iiRdS2_S2_S2_.cyc_nod
	.section	.rodata,"a",@progbits
	.p2align	4, 0x0
__const._ZN8rajaperf14hex_intsc_subzEPKdS1_iiRdS2_S2_S2_.cyc_nod:
	.long	1                               ; 0x1
	.long	5                               ; 0x5
	;; [unrolled: 1-line block ×7, first 2 shown]
	.size	__const._ZN8rajaperf14hex_intsc_subzEPKdS1_iiRdS2_S2_S2_.cyc_nod, 28

	.type	__const._ZN8rajaperf14hex_intsc_subzEPKdS1_iiRdS2_S2_S2_.vert_cyc,@object ; @__const._ZN8rajaperf14hex_intsc_subzEPKdS1_iiRdS2_S2_S2_.vert_cyc
	.p2align	4, 0x0
__const._ZN8rajaperf14hex_intsc_subzEPKdS1_iiRdS2_S2_S2_.vert_cyc:
	.long	1                               ; 0x1
	.long	3                               ; 0x3
	;; [unrolled: 1-line block ×6, first 2 shown]
	.size	__const._ZN8rajaperf14hex_intsc_subzEPKdS1_iiRdS2_S2_S2_.vert_cyc, 24

	.type	__hip_cuid_2c43c9afbe4fb897,@object ; @__hip_cuid_2c43c9afbe4fb897
	.section	.bss,"aw",@nobits
	.globl	__hip_cuid_2c43c9afbe4fb897
__hip_cuid_2c43c9afbe4fb897:
	.byte	0                               ; 0x0
	.size	__hip_cuid_2c43c9afbe4fb897, 1

	.ident	"AMD clang version 22.0.0git (https://github.com/RadeonOpenCompute/llvm-project roc-7.2.4 26084 f58b06dce1f9c15707c5f808fd002e18c2accf7e)"
	.section	".note.GNU-stack","",@progbits
	.addrsig
	.addrsig_sym __hip_cuid_2c43c9afbe4fb897
	.amdgpu_metadata
---
amdhsa.kernels:
  - .args:
      - .address_space:  global
        .offset:         0
        .size:           8
        .value_kind:     global_buffer
      - .address_space:  global
        .offset:         8
        .size:           8
        .value_kind:     global_buffer
      - .offset:         16
        .size:           8
        .value_kind:     by_value
      - .address_space:  global
        .offset:         24
        .size:           8
        .value_kind:     global_buffer
    .group_segment_fixed_size: 5248
    .kernarg_segment_align: 8
    .kernarg_segment_size: 32
    .language:       OpenCL C
    .language_version:
      - 2
      - 0
    .max_flat_workgroup_size: 64
    .name:           _ZN8rajaperf4apps16intsc_hexhex_hipILm64EEEvPdS2_mS2_
    .private_segment_fixed_size: 20
    .sgpr_count:     36
    .sgpr_spill_count: 0
    .symbol:         _ZN8rajaperf4apps16intsc_hexhex_hipILm64EEEvPdS2_mS2_.kd
    .uniform_work_group_size: 1
    .uses_dynamic_stack: false
    .vgpr_count:     154
    .vgpr_spill_count: 0
    .wavefront_size: 32
  - .args:
      - .address_space:  global
        .offset:         0
        .size:           8
        .value_kind:     global_buffer
      - .offset:         8
        .size:           8
        .value_kind:     by_value
      - .address_space:  global
        .offset:         16
        .size:           8
        .value_kind:     global_buffer
    .group_segment_fixed_size: 0
    .kernarg_segment_align: 8
    .kernarg_segment_size: 24
    .language:       OpenCL C
    .language_version:
      - 2
      - 0
    .max_flat_workgroup_size: 1024
    .name:           _ZN8rajaperf4apps32intsc_hexhex_hip_fixup_vv_64to72ILm64EEEvPdmS2_
    .private_segment_fixed_size: 0
    .sgpr_count:     9
    .sgpr_spill_count: 0
    .symbol:         _ZN8rajaperf4apps32intsc_hexhex_hip_fixup_vv_64to72ILm64EEEvPdmS2_.kd
    .uniform_work_group_size: 1
    .uses_dynamic_stack: false
    .vgpr_count:     10
    .vgpr_spill_count: 0
    .wavefront_size: 32
  - .args:
      - .offset:         0
        .size:           8
        .value_kind:     by_value
      - .offset:         8
        .size:           8
        .value_kind:     by_value
      - .offset:         16
        .size:           32
        .value_kind:     by_value
    .group_segment_fixed_size: 5248
    .kernarg_segment_align: 8
    .kernarg_segment_size: 48
    .language:       OpenCL C
    .language_version:
      - 2
      - 0
    .max_flat_workgroup_size: 64
    .name:           _ZN8rajaperf17lambda_hip_forallILm64EZNS_4apps12INTSC_HEXHEX17runHipVariantImplILm64EEEvNS_9VariantIDEEUllE_EEvllT0_
    .private_segment_fixed_size: 20
    .sgpr_count:     34
    .sgpr_spill_count: 0
    .symbol:         _ZN8rajaperf17lambda_hip_forallILm64EZNS_4apps12INTSC_HEXHEX17runHipVariantImplILm64EEEvNS_9VariantIDEEUllE_EEvllT0_.kd
    .uniform_work_group_size: 1
    .uses_dynamic_stack: false
    .vgpr_count:     156
    .vgpr_spill_count: 0
    .wavefront_size: 32
  - .args:
      - .offset:         0
        .size:           8
        .value_kind:     by_value
      - .offset:         8
        .size:           8
        .value_kind:     by_value
      - .offset:         16
        .size:           24
        .value_kind:     by_value
    .group_segment_fixed_size: 0
    .kernarg_segment_align: 8
    .kernarg_segment_size: 40
    .language:       OpenCL C
    .language_version:
      - 2
      - 0
    .max_flat_workgroup_size: 64
    .name:           _ZN8rajaperf17lambda_hip_forallILm64EZNS_4apps12INTSC_HEXHEX17runHipVariantImplILm64EEEvNS_9VariantIDEEUllE0_EEvllT0_
    .private_segment_fixed_size: 0
    .sgpr_count:     11
    .sgpr_spill_count: 0
    .symbol:         _ZN8rajaperf17lambda_hip_forallILm64EZNS_4apps12INTSC_HEXHEX17runHipVariantImplILm64EEEvNS_9VariantIDEEUllE0_EEvllT0_.kd
    .uniform_work_group_size: 1
    .uses_dynamic_stack: false
    .vgpr_count:     10
    .vgpr_spill_count: 0
    .wavefront_size: 32
  - .args:
      - .offset:         0
        .size:           32
        .value_kind:     by_value
      - .offset:         32
        .size:           8
        .value_kind:     by_value
      - .offset:         40
        .size:           8
        .value_kind:     by_value
      - .offset:         48
        .size:           1
        .value_kind:     by_value
    .group_segment_fixed_size: 5248
    .kernarg_segment_align: 8
    .kernarg_segment_size: 52
    .language:       OpenCL C
    .language_version:
      - 2
      - 0
    .max_flat_workgroup_size: 64
    .name:           _ZN4RAJA6policy3hip4impl18forallp_hip_kernelINS1_8hip_execINS_17iteration_mapping6DirectENS_3hip11IndexGlobalILNS_9named_dimE0ELi64ELi0EEENS7_40AvoidDeviceMaxThreadOccupancyConcretizerINS7_34FractionOffsetOccupancyConcretizerINS_8FractionImLm1ELm1EEELln1EEEEELb1EEENS_9Iterators16numeric_iteratorIllPlEEZN8rajaperf4apps12INTSC_HEXHEX17runHipVariantImplILm64EEEvNSM_9VariantIDEEUllE1_lNS_4expt15ForallParamPackIJEEES6_SA_TnNSt9enable_ifIXaasr3std10is_base_ofINS5_10DirectBaseET4_EE5valuegtsrT5_10block_sizeLi0EEmE4typeELm64EEEvT1_T0_T2_T3_
    .private_segment_fixed_size: 20
    .sgpr_count:     34
    .sgpr_spill_count: 0
    .symbol:         _ZN4RAJA6policy3hip4impl18forallp_hip_kernelINS1_8hip_execINS_17iteration_mapping6DirectENS_3hip11IndexGlobalILNS_9named_dimE0ELi64ELi0EEENS7_40AvoidDeviceMaxThreadOccupancyConcretizerINS7_34FractionOffsetOccupancyConcretizerINS_8FractionImLm1ELm1EEELln1EEEEELb1EEENS_9Iterators16numeric_iteratorIllPlEEZN8rajaperf4apps12INTSC_HEXHEX17runHipVariantImplILm64EEEvNSM_9VariantIDEEUllE1_lNS_4expt15ForallParamPackIJEEES6_SA_TnNSt9enable_ifIXaasr3std10is_base_ofINS5_10DirectBaseET4_EE5valuegtsrT5_10block_sizeLi0EEmE4typeELm64EEEvT1_T0_T2_T3_.kd
    .uniform_work_group_size: 1
    .uses_dynamic_stack: false
    .vgpr_count:     156
    .vgpr_spill_count: 0
    .wavefront_size: 32
  - .args:
      - .offset:         0
        .size:           24
        .value_kind:     by_value
      - .offset:         24
        .size:           8
        .value_kind:     by_value
      - .offset:         32
        .size:           8
        .value_kind:     by_value
      - .offset:         40
        .size:           1
        .value_kind:     by_value
    .group_segment_fixed_size: 0
    .kernarg_segment_align: 8
    .kernarg_segment_size: 44
    .language:       OpenCL C
    .language_version:
      - 2
      - 0
    .max_flat_workgroup_size: 64
    .name:           _ZN4RAJA6policy3hip4impl18forallp_hip_kernelINS1_8hip_execINS_17iteration_mapping6DirectENS_3hip11IndexGlobalILNS_9named_dimE0ELi64ELi0EEENS7_40AvoidDeviceMaxThreadOccupancyConcretizerINS7_34FractionOffsetOccupancyConcretizerINS_8FractionImLm1ELm1EEELln1EEEEELb1EEENS_9Iterators16numeric_iteratorIllPlEEZN8rajaperf4apps12INTSC_HEXHEX17runHipVariantImplILm64EEEvNSM_9VariantIDEEUllE2_lNS_4expt15ForallParamPackIJEEES6_SA_TnNSt9enable_ifIXaasr3std10is_base_ofINS5_10DirectBaseET4_EE5valuegtsrT5_10block_sizeLi0EEmE4typeELm64EEEvT1_T0_T2_T3_
    .private_segment_fixed_size: 0
    .sgpr_count:     14
    .sgpr_spill_count: 0
    .symbol:         _ZN4RAJA6policy3hip4impl18forallp_hip_kernelINS1_8hip_execINS_17iteration_mapping6DirectENS_3hip11IndexGlobalILNS_9named_dimE0ELi64ELi0EEENS7_40AvoidDeviceMaxThreadOccupancyConcretizerINS7_34FractionOffsetOccupancyConcretizerINS_8FractionImLm1ELm1EEELln1EEEEELb1EEENS_9Iterators16numeric_iteratorIllPlEEZN8rajaperf4apps12INTSC_HEXHEX17runHipVariantImplILm64EEEvNSM_9VariantIDEEUllE2_lNS_4expt15ForallParamPackIJEEES6_SA_TnNSt9enable_ifIXaasr3std10is_base_ofINS5_10DirectBaseET4_EE5valuegtsrT5_10block_sizeLi0EEmE4typeELm64EEEvT1_T0_T2_T3_.kd
    .uniform_work_group_size: 1
    .uses_dynamic_stack: false
    .vgpr_count:     10
    .vgpr_spill_count: 0
    .wavefront_size: 32
amdhsa.target:   amdgcn-amd-amdhsa--gfx1250
amdhsa.version:
  - 1
  - 2
...

	.end_amdgpu_metadata
